;; amdgpu-corpus repo=ROCm/rocFFT kind=compiled arch=gfx1201 opt=O3
	.text
	.amdgcn_target "amdgcn-amd-amdhsa--gfx1201"
	.amdhsa_code_object_version 6
	.protected	bluestein_single_back_len1875_dim1_dp_op_CI_CI ; -- Begin function bluestein_single_back_len1875_dim1_dp_op_CI_CI
	.globl	bluestein_single_back_len1875_dim1_dp_op_CI_CI
	.p2align	8
	.type	bluestein_single_back_len1875_dim1_dp_op_CI_CI,@function
bluestein_single_back_len1875_dim1_dp_op_CI_CI: ; @bluestein_single_back_len1875_dim1_dp_op_CI_CI
; %bb.0:
	s_load_b128 s[16:19], s[0:1], 0x28
	v_mul_u32_u24_e32 v1, 0x20d, v0
	v_mov_b32_e32 v3, 0
	s_mov_b32 s2, exec_lo
	s_delay_alu instid0(VALU_DEP_2) | instskip(NEXT) | instid1(VALU_DEP_1)
	v_lshrrev_b32_e32 v60, 16, v1
	v_lshl_add_u32 v2, ttmp9, 1, v60
	s_wait_kmcnt 0x0
	s_delay_alu instid0(VALU_DEP_1)
	v_cmpx_gt_u64_e64 s[16:17], v[2:3]
	s_cbranch_execz .LBB0_2
; %bb.1:
	s_clause 0x1
	s_load_b128 s[4:7], s[0:1], 0x18
	s_load_b128 s[8:11], s[0:1], 0x0
	v_mul_lo_u16 v1, 0x7d, v60
	s_mov_b32 s16, 0x134454ff
	s_mov_b32 s17, 0x3fee6f0e
	;; [unrolled: 1-line block ×3, first 2 shown]
	s_load_b64 s[0:1], s[0:1], 0x38
	v_sub_nc_u16 v156, v0, v1
	s_delay_alu instid0(VALU_DEP_1)
	v_dual_mov_b32 v4, v2 :: v_dual_and_b32 v7, 0xffff, v156
	v_and_b32_e32 v157, 0xff, v156
	scratch_store_b64 off, v[4:5], off      ; 8-byte Folded Spill
	s_wait_kmcnt 0x0
	s_load_b128 s[12:15], s[4:5], 0x0
	s_wait_kmcnt 0x0
	v_mad_co_u64_u32 v[0:1], null, s14, v2, 0
	v_mad_co_u64_u32 v[2:3], null, s12, v7, 0
	s_mul_u64 s[2:3], s[12:13], 0x1770
	s_mul_i32 s4, s13, 0xffffaa10
	s_delay_alu instid0(SALU_CYCLE_1) | instskip(NEXT) | instid1(VALU_DEP_1)
	s_sub_co_i32 s4, s4, s12
	v_mad_co_u64_u32 v[4:5], null, s15, v4, v[1:2]
	v_mov_b32_e32 v134, v7
	s_mov_b32 s14, 0x372fe950
	s_mov_b32 s15, 0x3fd3c6ef
	s_delay_alu instid0(VALU_DEP_2) | instskip(SKIP_3) | instid1(VALU_DEP_3)
	v_mov_b32_e32 v1, v4
	v_mad_co_u64_u32 v[5:6], null, s13, v7, v[3:4]
	v_lshlrev_b32_e32 v231, 4, v134
	s_mov_b32 s13, 0xbfe2cf23
	v_lshlrev_b64_e32 v[0:1], 4, v[0:1]
	v_add_co_u32 v162, null, 0x7d, v134
	v_add_co_u32 v161, null, 0xfa, v134
	v_mov_b32_e32 v3, v5
	s_delay_alu instid0(VALU_DEP_4) | instskip(SKIP_1) | instid1(VALU_DEP_3)
	v_add_co_u32 v0, vcc_lo, s18, v0
	v_add_co_ci_u32_e32 v1, vcc_lo, s19, v1, vcc_lo
	v_lshlrev_b64_e32 v[2:3], 4, v[2:3]
	s_mov_b32 s19, 0xbfee6f0e
	s_mov_b32 s18, s16
	v_and_b32_e32 v158, 0xff, v162
	v_and_b32_e32 v163, 0xffff, v161
	s_delay_alu instid0(VALU_DEP_3) | instskip(SKIP_2) | instid1(VALU_DEP_2)
	v_add_co_u32 v0, vcc_lo, v0, v2
	s_wait_alu 0xfffd
	v_add_co_ci_u32_e32 v1, vcc_lo, v1, v3, vcc_lo
	v_add_co_u32 v2, vcc_lo, v0, s2
	s_wait_alu 0xfffd
	s_delay_alu instid0(VALU_DEP_2)
	v_add_co_ci_u32_e32 v3, vcc_lo, s3, v1, vcc_lo
	global_load_b128 v[16:19], v231, s[8:9]
	global_load_b128 v[8:11], v[0:1], off
	global_load_b128 v[20:23], v231, s[8:9] offset:6000
	global_load_b128 v[12:15], v[2:3], off
	v_add_co_u32 v2, vcc_lo, v2, s2
	s_wait_alu 0xfffd
	v_add_co_ci_u32_e32 v3, vcc_lo, s3, v3, vcc_lo
	s_wait_loadcnt 0x3
	v_mov_b32_e32 v27, v19
	s_wait_loadcnt 0x2
	v_mul_f64_e32 v[0:1], v[10:11], v[18:19]
	v_mul_f64_e32 v[4:5], v[8:9], v[18:19]
	v_mov_b32_e32 v26, v18
	v_dual_mov_b32 v24, v16 :: v_dual_mov_b32 v25, v17
	s_wait_loadcnt 0x0
	v_mul_f64_e32 v[6:7], v[14:15], v[22:23]
	v_mul_f64_e32 v[16:17], v[12:13], v[22:23]
	s_delay_alu instid0(VALU_DEP_3)
	v_fma_f64 v[61:62], v[8:9], v[24:25], v[0:1]
	v_fma_f64 v[63:64], v[10:11], v[24:25], -v[4:5]
	global_load_b128 v[8:11], v231, s[8:9] offset:12000
	scratch_store_b128 off, v[20:23], off offset:8 ; 16-byte Folded Spill
	v_fma_f64 v[65:66], v[12:13], v[20:21], v[6:7]
	v_fma_f64 v[67:68], v[14:15], v[20:21], -v[16:17]
	global_load_b128 v[12:15], v[2:3], off
	s_wait_loadcnt 0x1
	scratch_store_b128 off, v[8:11], off offset:24 ; 16-byte Folded Spill
	s_wait_loadcnt 0x0
	v_mul_f64_e32 v[0:1], v[14:15], v[10:11]
	v_mul_f64_e32 v[4:5], v[12:13], v[10:11]
	s_delay_alu instid0(VALU_DEP_2) | instskip(SKIP_3) | instid1(VALU_DEP_4)
	v_fma_f64 v[69:70], v[12:13], v[8:9], v[0:1]
	v_add_co_u32 v0, vcc_lo, v2, s2
	s_wait_alu 0xfffd
	v_add_co_ci_u32_e32 v1, vcc_lo, s3, v3, vcc_lo
	v_fma_f64 v[71:72], v[14:15], v[8:9], -v[4:5]
	global_load_b128 v[6:9], v231, s[8:9] offset:18000
	scratch_store_b128 off, v[24:27], off offset:232 ; 16-byte Folded Spill
	global_load_b128 v[16:19], v[0:1], off
	v_add_co_u32 v0, vcc_lo, v0, s2
	s_wait_alu 0xfffd
	v_add_co_ci_u32_e32 v1, vcc_lo, s3, v1, vcc_lo
	global_load_b128 v[20:23], v[0:1], off
	v_mad_co_u64_u32 v[0:1], null, 0xffffaa10, s12, v[0:1]
	s_delay_alu instid0(VALU_DEP_1)
	v_add_nc_u32_e32 v1, s4, v1
	global_load_b128 v[24:27], v[0:1], off
	v_add_co_u32 v0, vcc_lo, v0, s2
	s_wait_alu 0xfffd
	v_add_co_ci_u32_e32 v1, vcc_lo, s3, v1, vcc_lo
	global_load_b128 v[28:31], v[0:1], off
	v_add_co_u32 v0, vcc_lo, v0, s2
	s_wait_alu 0xfffd
	v_add_co_ci_u32_e32 v1, vcc_lo, s3, v1, vcc_lo
	;; [unrolled: 4-line block ×4, first 2 shown]
	global_load_b128 v[40:43], v[0:1], off
	v_mad_co_u64_u32 v[0:1], null, 0xffffaa10, s12, v[0:1]
	s_delay_alu instid0(VALU_DEP_1)
	v_add_nc_u32_e32 v1, s4, v1
	global_load_b128 v[44:47], v[0:1], off
	v_add_co_u32 v0, vcc_lo, v0, s2
	s_wait_alu 0xfffd
	v_add_co_ci_u32_e32 v1, vcc_lo, s3, v1, vcc_lo
	global_load_b128 v[48:51], v[0:1], off
	v_add_co_u32 v0, vcc_lo, v0, s2
	s_wait_alu 0xfffd
	v_add_co_ci_u32_e32 v1, vcc_lo, s3, v1, vcc_lo
	;; [unrolled: 4-line block ×4, first 2 shown]
	s_mov_b32 s2, 0x4755a5e
	s_mov_b32 s3, 0x3fe2cf23
	s_wait_alu 0xfffe
	s_mov_b32 s12, s2
	s_wait_loadcnt 0xb
	scratch_store_b128 off, v[6:9], off offset:40 ; 16-byte Folded Spill
	s_wait_loadcnt 0xa
	v_mul_f64_e32 v[2:3], v[18:19], v[8:9]
	v_mul_f64_e32 v[4:5], v[16:17], v[8:9]
	s_delay_alu instid0(VALU_DEP_2) | instskip(NEXT) | instid1(VALU_DEP_2)
	v_fma_f64 v[73:74], v[16:17], v[6:7], v[2:3]
	v_fma_f64 v[75:76], v[18:19], v[6:7], -v[4:5]
	global_load_b128 v[6:9], v231, s[8:9] offset:24000
	s_wait_loadcnt 0x0
	v_mul_f64_e32 v[2:3], v[22:23], v[8:9]
	v_mul_f64_e32 v[4:5], v[20:21], v[8:9]
	scratch_store_b128 off, v[6:9], off offset:56 ; 16-byte Folded Spill
	v_fma_f64 v[77:78], v[20:21], v[6:7], v[2:3]
	v_fma_f64 v[79:80], v[22:23], v[6:7], -v[4:5]
	global_load_b128 v[6:9], v231, s[8:9] offset:2000
	s_wait_loadcnt 0x0
	v_mul_f64_e32 v[2:3], v[26:27], v[8:9]
	v_mul_f64_e32 v[4:5], v[24:25], v[8:9]
	scratch_store_b128 off, v[6:9], off offset:72 ; 16-byte Folded Spill
	v_fma_f64 v[81:82], v[24:25], v[6:7], v[2:3]
	v_fma_f64 v[83:84], v[26:27], v[6:7], -v[4:5]
	global_load_b128 v[6:9], v231, s[8:9] offset:8000
	s_wait_loadcnt 0x0
	v_mul_f64_e32 v[2:3], v[30:31], v[8:9]
	v_mul_f64_e32 v[4:5], v[28:29], v[8:9]
	scratch_store_b128 off, v[6:9], off offset:88 ; 16-byte Folded Spill
	v_fma_f64 v[85:86], v[28:29], v[6:7], v[2:3]
	v_fma_f64 v[87:88], v[30:31], v[6:7], -v[4:5]
	global_load_b128 v[6:9], v231, s[8:9] offset:14000
	s_wait_loadcnt 0x0
	v_mul_f64_e32 v[2:3], v[34:35], v[8:9]
	v_mul_f64_e32 v[4:5], v[32:33], v[8:9]
	scratch_store_b128 off, v[6:9], off offset:104 ; 16-byte Folded Spill
	v_fma_f64 v[89:90], v[32:33], v[6:7], v[2:3]
	v_fma_f64 v[91:92], v[34:35], v[6:7], -v[4:5]
	global_load_b128 v[6:9], v231, s[8:9] offset:20000
	s_wait_loadcnt 0x0
	v_mul_f64_e32 v[2:3], v[38:39], v[8:9]
	v_mul_f64_e32 v[4:5], v[36:37], v[8:9]
	scratch_store_b128 off, v[6:9], off offset:120 ; 16-byte Folded Spill
	v_fma_f64 v[93:94], v[36:37], v[6:7], v[2:3]
	v_fma_f64 v[95:96], v[38:39], v[6:7], -v[4:5]
	global_load_b128 v[6:9], v231, s[8:9] offset:26000
	s_wait_loadcnt 0x0
	v_mul_f64_e32 v[2:3], v[42:43], v[8:9]
	v_mul_f64_e32 v[4:5], v[40:41], v[8:9]
	scratch_store_b128 off, v[6:9], off offset:136 ; 16-byte Folded Spill
	v_fma_f64 v[97:98], v[40:41], v[6:7], v[2:3]
	v_fma_f64 v[99:100], v[42:43], v[6:7], -v[4:5]
	global_load_b128 v[6:9], v231, s[8:9] offset:4000
	s_wait_loadcnt 0x0
	v_mul_f64_e32 v[2:3], v[46:47], v[8:9]
	v_mul_f64_e32 v[4:5], v[44:45], v[8:9]
	scratch_store_b128 off, v[6:9], off offset:152 ; 16-byte Folded Spill
	v_fma_f64 v[101:102], v[44:45], v[6:7], v[2:3]
	v_fma_f64 v[103:104], v[46:47], v[6:7], -v[4:5]
	global_load_b128 v[6:9], v231, s[8:9] offset:10000
	s_wait_loadcnt 0x0
	v_mul_f64_e32 v[2:3], v[50:51], v[8:9]
	v_mul_f64_e32 v[4:5], v[48:49], v[8:9]
	scratch_store_b128 off, v[6:9], off offset:168 ; 16-byte Folded Spill
	v_fma_f64 v[105:106], v[48:49], v[6:7], v[2:3]
	v_fma_f64 v[107:108], v[50:51], v[6:7], -v[4:5]
	global_load_b128 v[6:9], v231, s[8:9] offset:16000
	s_wait_loadcnt 0x0
	v_mul_f64_e32 v[2:3], v[54:55], v[8:9]
	v_mul_f64_e32 v[4:5], v[52:53], v[8:9]
	scratch_store_b128 off, v[6:9], off offset:184 ; 16-byte Folded Spill
	v_fma_f64 v[109:110], v[52:53], v[6:7], v[2:3]
	v_fma_f64 v[111:112], v[54:55], v[6:7], -v[4:5]
	global_load_b128 v[6:9], v231, s[8:9] offset:22000
	s_wait_loadcnt 0x0
	v_mul_f64_e32 v[2:3], v[58:59], v[8:9]
	v_mul_f64_e32 v[4:5], v[56:57], v[8:9]
	scratch_store_b128 off, v[6:9], off offset:200 ; 16-byte Folded Spill
	v_fma_f64 v[113:114], v[56:57], v[6:7], v[2:3]
	v_fma_f64 v[115:116], v[58:59], v[6:7], -v[4:5]
	global_load_b128 v[117:120], v[0:1], off
	global_load_b128 v[4:7], v231, s[8:9] offset:28000
	s_wait_loadcnt 0x0
	v_mul_f64_e32 v[0:1], v[119:120], v[6:7]
	v_mul_f64_e32 v[2:3], v[117:118], v[6:7]
	scratch_store_b128 off, v[4:7], off offset:216 ; 16-byte Folded Spill
	v_fma_f64 v[117:118], v[117:118], v[4:5], v[0:1]
	v_fma_f64 v[119:120], v[119:120], v[4:5], -v[2:3]
	v_and_b32_e32 v0, 1, v60
	s_delay_alu instid0(VALU_DEP_1) | instskip(SKIP_2) | instid1(VALU_DEP_1)
	v_cmp_eq_u32_e32 vcc_lo, 1, v0
	s_wait_alu 0xfffd
	v_cndmask_b32_e64 v160, 0, 0x7530, vcc_lo
	v_add_nc_u32_e32 v230, v160, v231
	ds_store_b128 v230, v[61:64]
	ds_store_b128 v230, v[65:68] offset:6000
	ds_store_b128 v230, v[69:72] offset:12000
	ds_store_b128 v230, v[73:76] offset:18000
	ds_store_b128 v230, v[77:80] offset:24000
	ds_store_b128 v230, v[81:84] offset:2000
	ds_store_b128 v230, v[85:88] offset:8000
	ds_store_b128 v230, v[89:92] offset:14000
	ds_store_b128 v230, v[93:96] offset:20000
	ds_store_b128 v230, v[97:100] offset:26000
	ds_store_b128 v230, v[101:104] offset:4000
	ds_store_b128 v230, v[105:108] offset:10000
	ds_store_b128 v230, v[109:112] offset:16000
	ds_store_b128 v230, v[113:116] offset:22000
	ds_store_b128 v230, v[117:120] offset:28000
	s_load_b128 s[4:7], s[6:7], 0x0
	global_wb scope:SCOPE_SE
	s_wait_storecnt_dscnt 0x0
	s_wait_kmcnt 0x0
	s_barrier_signal -1
	s_barrier_wait -1
	global_inv scope:SCOPE_SE
	ds_load_b128 v[60:63], v230
	ds_load_b128 v[64:67], v230 offset:6000
	ds_load_b128 v[68:71], v230 offset:24000
	;; [unrolled: 1-line block ×3, first 2 shown]
	s_wait_dscnt 0x2
	v_add_f64_e32 v[0:1], v[60:61], v[64:65]
	v_add_f64_e32 v[2:3], v[62:63], v[66:67]
	s_wait_dscnt 0x1
	v_add_f64_e32 v[4:5], v[64:65], v[68:69]
	v_add_f64_e64 v[6:7], v[66:67], -v[70:71]
	v_add_f64_e32 v[8:9], v[66:67], v[70:71]
	s_wait_dscnt 0x0
	v_add_f64_e64 v[10:11], v[64:65], -v[72:73]
	v_add_f64_e64 v[12:13], v[72:73], -v[64:65]
	;; [unrolled: 1-line block ×5, first 2 shown]
	ds_load_b128 v[64:67], v230 offset:18000
	s_wait_dscnt 0x0
	v_add_f64_e32 v[20:21], v[72:73], v[64:65]
	v_add_f64_e32 v[22:23], v[74:75], v[66:67]
	v_add_f64_e64 v[24:25], v[74:75], -v[66:67]
	v_add_f64_e64 v[26:27], v[72:73], -v[64:65]
	;; [unrolled: 1-line block ×6, first 2 shown]
	v_add_f64_e32 v[0:1], v[0:1], v[72:73]
	v_add_f64_e32 v[2:3], v[2:3], v[74:75]
	v_fma_f64 v[8:9], v[8:9], -0.5, v[62:63]
	v_add_f64_e32 v[10:11], v[10:11], v[28:29]
	v_add_f64_e32 v[16:17], v[16:17], v[32:33]
	;; [unrolled: 1-line block ×4, first 2 shown]
	s_delay_alu instid0(VALU_DEP_2) | instskip(NEXT) | instid1(VALU_DEP_2)
	v_add_f64_e32 v[64:65], v[0:1], v[68:69]
	v_add_f64_e32 v[66:67], v[2:3], v[70:71]
	ds_load_b128 v[68:71], v230 offset:8000
	ds_load_b128 v[72:75], v230 offset:2000
	;; [unrolled: 1-line block ×4, first 2 shown]
	s_wait_dscnt 0x2
	v_add_f64_e32 v[0:1], v[72:73], v[68:69]
	v_add_f64_e32 v[2:3], v[74:75], v[70:71]
	s_wait_dscnt 0x1
	v_add_f64_e32 v[36:37], v[68:69], v[76:77]
	v_add_f64_e32 v[38:39], v[70:71], v[78:79]
	v_add_f64_e64 v[40:41], v[70:71], -v[78:79]
	s_wait_dscnt 0x0
	v_add_f64_e64 v[42:43], v[68:69], -v[80:81]
	v_add_f64_e64 v[44:45], v[80:81], -v[68:69]
	;; [unrolled: 1-line block ×5, first 2 shown]
	ds_load_b128 v[68:71], v230 offset:20000
	s_wait_dscnt 0x0
	v_add_f64_e32 v[52:53], v[80:81], v[68:69]
	v_add_f64_e32 v[54:55], v[82:83], v[70:71]
	v_add_f64_e64 v[56:57], v[82:83], -v[70:71]
	v_add_f64_e64 v[58:59], v[80:81], -v[68:69]
	;; [unrolled: 1-line block ×6, first 2 shown]
	v_add_f64_e32 v[0:1], v[0:1], v[80:81]
	v_add_f64_e32 v[2:3], v[2:3], v[82:83]
	v_fma_f64 v[38:39], v[38:39], -0.5, v[74:75]
	s_delay_alu instid0(VALU_DEP_3) | instskip(NEXT) | instid1(VALU_DEP_3)
	v_add_f64_e32 v[0:1], v[0:1], v[68:69]
	v_add_f64_e32 v[2:3], v[2:3], v[70:71]
	s_delay_alu instid0(VALU_DEP_2) | instskip(NEXT) | instid1(VALU_DEP_2)
	v_add_f64_e32 v[68:69], v[0:1], v[76:77]
	v_add_f64_e32 v[70:71], v[2:3], v[78:79]
	ds_load_b128 v[76:79], v230 offset:10000
	ds_load_b128 v[80:83], v230 offset:4000
	;; [unrolled: 1-line block ×4, first 2 shown]
	s_wait_dscnt 0x2
	v_add_f64_e32 v[2:3], v[82:83], v[78:79]
	v_add_f64_e32 v[0:1], v[80:81], v[76:77]
	s_wait_dscnt 0x1
	v_add_f64_e32 v[100:101], v[76:77], v[84:85]
	v_add_f64_e32 v[102:103], v[78:79], v[86:87]
	v_add_f64_e64 v[112:113], v[78:79], -v[86:87]
	s_wait_dscnt 0x0
	v_add_f64_e64 v[114:115], v[76:77], -v[88:89]
	v_add_f64_e64 v[116:117], v[76:77], -v[84:85]
	;; [unrolled: 1-line block ×5, first 2 shown]
	ds_load_b128 v[76:79], v230 offset:22000
	global_wb scope:SCOPE_SE
	s_wait_dscnt 0x0
	s_barrier_signal -1
	s_barrier_wait -1
	global_inv scope:SCOPE_SE
	v_add_f64_e32 v[110:111], v[90:91], v[78:79]
	v_add_f64_e64 v[120:121], v[90:91], -v[78:79]
	v_add_f64_e64 v[128:129], v[86:87], -v[78:79]
	;; [unrolled: 1-line block ×3, first 2 shown]
	v_add_f64_e32 v[108:109], v[88:89], v[76:77]
	v_add_f64_e64 v[122:123], v[88:89], -v[76:77]
	v_add_f64_e64 v[124:125], v[84:85], -v[76:77]
	;; [unrolled: 1-line block ×3, first 2 shown]
	v_add_f64_e32 v[2:3], v[2:3], v[90:91]
	v_add_f64_e32 v[0:1], v[0:1], v[88:89]
	v_fma_f64 v[132:133], v[110:111], -0.5, v[82:83]
	s_delay_alu instid0(VALU_DEP_3) | instskip(NEXT) | instid1(VALU_DEP_3)
	v_add_f64_e32 v[2:3], v[2:3], v[78:79]
	v_add_f64_e32 v[0:1], v[0:1], v[76:77]
	s_delay_alu instid0(VALU_DEP_2) | instskip(SKIP_2) | instid1(VALU_DEP_4)
	v_add_f64_e32 v[78:79], v[2:3], v[86:87]
	v_fma_f64 v[2:3], v[4:5], -0.5, v[60:61]
	v_fma_f64 v[4:5], v[22:23], -0.5, v[62:63]
	v_add_f64_e32 v[76:77], v[0:1], v[84:85]
	v_fma_f64 v[0:1], v[20:21], -0.5, v[60:61]
	v_fma_f64 v[22:23], v[36:37], -0.5, v[72:73]
	v_fma_f64 v[36:37], v[54:55], -0.5, v[74:75]
	v_fma_f64 v[20:21], v[52:53], -0.5, v[72:73]
	v_fma_f64 v[52:53], v[108:109], -0.5, v[80:81]
	v_fma_f64 v[108:109], v[102:103], -0.5, v[82:83]
	v_fma_f64 v[54:55], v[100:101], -0.5, v[80:81]
	v_fma_f64 v[32:33], v[14:15], s[18:19], v[4:5]
	v_fma_f64 v[4:5], v[14:15], s[16:17], v[4:5]
	;; [unrolled: 1-line block ×4, first 2 shown]
	s_delay_alu instid0(VALU_DEP_4) | instskip(NEXT) | instid1(VALU_DEP_4)
	v_fma_f64 v[32:33], v[26:27], s[12:13], v[32:33]
	v_fma_f64 v[4:5], v[26:27], s[2:3], v[4:5]
	s_delay_alu instid0(VALU_DEP_4) | instskip(NEXT) | instid1(VALU_DEP_4)
	v_fma_f64 v[28:29], v[24:25], s[2:3], v[28:29]
	v_fma_f64 v[0:1], v[24:25], s[12:13], v[0:1]
	;; [unrolled: 3-line block ×3, first 2 shown]
	v_fma_f64 v[4:5], v[26:27], s[16:17], v[8:9]
	s_delay_alu instid0(VALU_DEP_4)
	v_fma_f64 v[72:73], v[10:11], s[14:15], v[0:1]
	v_fma_f64 v[0:1], v[24:25], s[18:19], v[2:3]
	;; [unrolled: 1-line block ×5, first 2 shown]
	v_add_f64_e32 v[10:11], v[12:13], v[30:31]
	v_add_f64_e32 v[12:13], v[18:19], v[34:35]
	v_mul_u32_u24_e32 v32, 0x47af, v163
	s_delay_alu instid0(VALU_DEP_1) | instskip(NEXT) | instid1(VALU_DEP_1)
	v_lshrrev_b32_e32 v32, 16, v32
	v_sub_nc_u16 v33, v161, v32
	s_delay_alu instid0(VALU_DEP_1) | instskip(NEXT) | instid1(VALU_DEP_1)
	v_lshrrev_b16 v33, 1, v33
	v_add_nc_u16 v32, v33, v32
	v_fma_f64 v[4:5], v[14:15], s[12:13], v[4:5]
	v_fma_f64 v[0:1], v[6:7], s[2:3], v[0:1]
	;; [unrolled: 1-line block ×4, first 2 shown]
	v_add_f64_e32 v[8:9], v[44:45], v[96:97]
	v_fma_f64 v[82:83], v[12:13], s[14:15], v[4:5]
	v_fma_f64 v[4:5], v[40:41], s[16:17], v[20:21]
	;; [unrolled: 1-line block ×3, first 2 shown]
	v_add_f64_e32 v[0:1], v[42:43], v[92:93]
	v_fma_f64 v[86:87], v[12:13], s[14:15], v[6:7]
	v_fma_f64 v[6:7], v[46:47], s[18:19], v[36:37]
	;; [unrolled: 1-line block ×3, first 2 shown]
	v_add_f64_e32 v[2:3], v[48:49], v[94:95]
	v_add_f64_e32 v[10:11], v[50:51], v[98:99]
	v_fma_f64 v[4:5], v[56:57], s[2:3], v[4:5]
	v_fma_f64 v[6:7], v[58:59], s[12:13], v[6:7]
	s_delay_alu instid0(VALU_DEP_2) | instskip(SKIP_1) | instid1(VALU_DEP_3)
	v_fma_f64 v[88:89], v[0:1], s[14:15], v[4:5]
	v_fma_f64 v[4:5], v[40:41], s[18:19], v[20:21]
	;; [unrolled: 1-line block ×4, first 2 shown]
	s_delay_alu instid0(VALU_DEP_3) | instskip(NEXT) | instid1(VALU_DEP_2)
	v_fma_f64 v[4:5], v[56:57], s[12:13], v[4:5]
	v_fma_f64 v[6:7], v[58:59], s[2:3], v[6:7]
	s_delay_alu instid0(VALU_DEP_2) | instskip(SKIP_2) | instid1(VALU_DEP_4)
	v_fma_f64 v[92:93], v[0:1], s[14:15], v[4:5]
	v_fma_f64 v[4:5], v[58:59], s[16:17], v[38:39]
	;; [unrolled: 1-line block ×8, first 2 shown]
	s_delay_alu instid0(VALU_DEP_4) | instskip(NEXT) | instid1(VALU_DEP_4)
	v_fma_f64 v[6:7], v[46:47], s[2:3], v[6:7]
	v_fma_f64 v[2:3], v[40:41], s[12:13], v[2:3]
	s_delay_alu instid0(VALU_DEP_4)
	v_fma_f64 v[98:99], v[10:11], s[14:15], v[4:5]
	v_fma_f64 v[4:5], v[120:121], s[18:19], v[54:55]
	;; [unrolled: 1-line block ×3, first 2 shown]
	v_add_f64_e32 v[0:1], v[104:105], v[126:127]
	v_fma_f64 v[102:103], v[10:11], s[14:15], v[6:7]
	v_fma_f64 v[6:7], v[122:123], s[16:17], v[108:109]
	;; [unrolled: 1-line block ×3, first 2 shown]
	v_add_f64_e32 v[2:3], v[106:107], v[130:131]
	v_add_f64_e32 v[8:9], v[114:115], v[124:125]
	v_add_f64_e32 v[10:11], v[118:119], v[128:129]
	v_fma_f64 v[4:5], v[112:113], s[2:3], v[4:5]
	v_fma_f64 v[6:7], v[116:117], s[12:13], v[6:7]
	s_delay_alu instid0(VALU_DEP_2) | instskip(SKIP_1) | instid1(VALU_DEP_3)
	v_fma_f64 v[104:105], v[0:1], s[14:15], v[4:5]
	v_fma_f64 v[4:5], v[120:121], s[16:17], v[54:55]
	;; [unrolled: 1-line block ×4, first 2 shown]
	s_delay_alu instid0(VALU_DEP_3) | instskip(NEXT) | instid1(VALU_DEP_2)
	v_fma_f64 v[4:5], v[112:113], s[12:13], v[4:5]
	v_fma_f64 v[6:7], v[116:117], s[2:3], v[6:7]
	s_delay_alu instid0(VALU_DEP_2) | instskip(SKIP_2) | instid1(VALU_DEP_4)
	v_fma_f64 v[108:109], v[0:1], s[14:15], v[4:5]
	v_fma_f64 v[0:1], v[112:113], s[16:17], v[52:53]
	;; [unrolled: 1-line block ×8, first 2 shown]
	s_delay_alu instid0(VALU_DEP_4) | instskip(NEXT) | instid1(VALU_DEP_4)
	v_fma_f64 v[2:3], v[120:121], s[12:13], v[2:3]
	v_fma_f64 v[6:7], v[122:123], s[2:3], v[6:7]
	s_delay_alu instid0(VALU_DEP_4) | instskip(NEXT) | instid1(VALU_DEP_4)
	v_fma_f64 v[112:113], v[8:9], s[14:15], v[0:1]
	v_fma_f64 v[114:115], v[10:11], s[14:15], v[4:5]
	v_mul_lo_u16 v0, v156, 5
	v_fma_f64 v[116:117], v[8:9], s[14:15], v[2:3]
	v_fma_f64 v[118:119], v[10:11], s[14:15], v[6:7]
	s_delay_alu instid0(VALU_DEP_3) | instskip(NEXT) | instid1(VALU_DEP_1)
	v_and_b32_e32 v0, 0xffff, v0
	v_lshl_add_u32 v229, v0, 4, v160
	v_mul_u32_u24_e32 v0, 5, v162
	ds_store_b128 v229, v[64:67]
	ds_store_b128 v229, v[60:63] offset:16
	ds_store_b128 v229, v[80:83] offset:32
	;; [unrolled: 1-line block ×4, first 2 shown]
	v_lshl_add_u32 v0, v0, 4, v160
	v_mov_b32_e32 v60, v134
	scratch_store_b32 off, v0, off offset:444 ; 4-byte Folded Spill
	v_mov_b32_e32 v61, v60
	ds_store_b128 v0, v[68:71]
	ds_store_b128 v0, v[88:91] offset:16
	ds_store_b128 v0, v[96:99] offset:32
	;; [unrolled: 1-line block ×4, first 2 shown]
	v_mul_u32_u24_e32 v0, 5, v161
	s_delay_alu instid0(VALU_DEP_1)
	v_lshl_add_u32 v0, v0, 4, v160
	scratch_store_b32 off, v0, off offset:440 ; 4-byte Folded Spill
	ds_store_b128 v0, v[76:79]
	ds_store_b128 v0, v[112:115] offset:16
	ds_store_b128 v0, v[104:107] offset:32
	;; [unrolled: 1-line block ×4, first 2 shown]
	v_mul_lo_u16 v0, 0xcd, v157
	global_wb scope:SCOPE_SE
	s_wait_storecnt_dscnt 0x0
	s_barrier_signal -1
	s_barrier_wait -1
	global_inv scope:SCOPE_SE
	v_lshrrev_b16 v166, 10, v0
	ds_load_b128 v[64:67], v230 offset:6000
	ds_load_b128 v[80:83], v230 offset:8000
	;; [unrolled: 1-line block ×4, first 2 shown]
	v_mul_lo_u16 v0, v166, 5
	ds_load_b128 v[92:95], v230 offset:26000
	ds_load_b128 v[169:172], v230 offset:28000
	v_sub_nc_u16 v0, v156, v0
	s_delay_alu instid0(VALU_DEP_1) | instskip(NEXT) | instid1(VALU_DEP_1)
	v_and_b32_e32 v159, 0xff, v0
	v_lshlrev_b32_e32 v2, 6, v159
	global_load_b128 v[3:6], v2, s[10:11]
	s_wait_loadcnt_dscnt 0x5
	v_mul_f64_e32 v[0:1], v[66:67], v[5:6]
	scratch_store_b128 off, v[3:6], off offset:296 ; 16-byte Folded Spill
	v_fma_f64 v[142:143], v[64:65], v[3:4], -v[0:1]
	v_mul_f64_e32 v[0:1], v[64:65], v[5:6]
	s_delay_alu instid0(VALU_DEP_1)
	v_fma_f64 v[140:141], v[66:67], v[3:4], v[0:1]
	global_load_b128 v[3:6], v2, s[10:11] offset:16
	ds_load_b128 v[64:67], v230 offset:12000
	s_wait_loadcnt_dscnt 0x0
	v_mul_f64_e32 v[0:1], v[66:67], v[5:6]
	scratch_store_b128 off, v[3:6], off offset:280 ; 16-byte Folded Spill
	v_fma_f64 v[144:145], v[64:65], v[3:4], -v[0:1]
	v_mul_f64_e32 v[0:1], v[64:65], v[5:6]
	s_delay_alu instid0(VALU_DEP_1)
	v_fma_f64 v[146:147], v[66:67], v[3:4], v[0:1]
	global_load_b128 v[3:6], v2, s[10:11] offset:32
	ds_load_b128 v[64:67], v230 offset:18000
	s_wait_loadcnt_dscnt 0x0
	v_mul_f64_e32 v[0:1], v[66:67], v[5:6]
	scratch_store_b128 off, v[3:6], off offset:264 ; 16-byte Folded Spill
	v_fma_f64 v[150:151], v[64:65], v[3:4], -v[0:1]
	v_mul_f64_e32 v[0:1], v[64:65], v[5:6]
	s_delay_alu instid0(VALU_DEP_2) | instskip(NEXT) | instid1(VALU_DEP_2)
	v_add_f64_e64 v[16:17], v[144:145], -v[150:151]
	v_fma_f64 v[148:149], v[66:67], v[3:4], v[0:1]
	global_load_b128 v[2:5], v2, s[10:11] offset:48
	v_add_f64_e64 v[10:11], v[146:147], -v[148:149]
	s_wait_loadcnt 0x0
	v_mul_f64_e32 v[0:1], v[78:79], v[4:5]
	scratch_store_b128 off, v[2:5], off offset:248 ; 16-byte Folded Spill
	v_fma_f64 v[152:153], v[76:77], v[2:3], -v[0:1]
	v_mul_f64_e32 v[0:1], v[76:77], v[4:5]
	s_delay_alu instid0(VALU_DEP_2) | instskip(NEXT) | instid1(VALU_DEP_2)
	v_add_f64_e64 v[14:15], v[142:143], -v[152:153]
	v_fma_f64 v[154:155], v[78:79], v[2:3], v[0:1]
	v_mul_lo_u16 v0, 0xcd, v158
	v_add_f64_e64 v[20:21], v[150:151], -v[152:153]
	s_delay_alu instid0(VALU_DEP_2) | instskip(NEXT) | instid1(VALU_DEP_1)
	v_lshrrev_b16 v164, 10, v0
	v_mul_lo_u16 v0, v164, 5
	s_delay_alu instid0(VALU_DEP_1) | instskip(NEXT) | instid1(VALU_DEP_1)
	v_sub_nc_u16 v0, v162, v0
	v_and_b32_e32 v165, 0xff, v0
	s_delay_alu instid0(VALU_DEP_1)
	v_lshlrev_b32_e32 v2, 6, v165
	global_load_b128 v[3:6], v2, s[10:11]
	v_add_f64_e64 v[8:9], v[140:141], -v[154:155]
	s_wait_loadcnt 0x0
	v_mul_f64_e32 v[0:1], v[82:83], v[5:6]
	scratch_store_b128 off, v[3:6], off offset:312 ; 16-byte Folded Spill
	v_fma_f64 v[126:127], v[80:81], v[3:4], -v[0:1]
	v_mul_f64_e32 v[0:1], v[80:81], v[5:6]
	s_delay_alu instid0(VALU_DEP_1)
	v_fma_f64 v[124:125], v[82:83], v[3:4], v[0:1]
	global_load_b128 v[3:6], v2, s[10:11] offset:16
	ds_load_b128 v[80:83], v230 offset:14000
	s_wait_loadcnt_dscnt 0x0
	v_mul_f64_e32 v[0:1], v[82:83], v[5:6]
	scratch_store_b128 off, v[3:6], off offset:344 ; 16-byte Folded Spill
	v_fma_f64 v[128:129], v[80:81], v[3:4], -v[0:1]
	v_mul_f64_e32 v[0:1], v[80:81], v[5:6]
	s_delay_alu instid0(VALU_DEP_1)
	v_fma_f64 v[130:131], v[82:83], v[3:4], v[0:1]
	global_load_b128 v[3:6], v2, s[10:11] offset:32
	s_wait_loadcnt 0x0
	v_mul_f64_e32 v[0:1], v[90:91], v[5:6]
	scratch_store_b128 off, v[3:6], off offset:328 ; 16-byte Folded Spill
	v_fma_f64 v[134:135], v[88:89], v[3:4], -v[0:1]
	v_mul_f64_e32 v[0:1], v[88:89], v[5:6]
	s_delay_alu instid0(VALU_DEP_1)
	v_fma_f64 v[132:133], v[90:91], v[3:4], v[0:1]
	global_load_b128 v[2:5], v2, s[10:11] offset:48
	s_wait_loadcnt 0x0
	v_mul_f64_e32 v[0:1], v[94:95], v[4:5]
	scratch_store_b128 off, v[2:5], off offset:360 ; 16-byte Folded Spill
	v_fma_f64 v[136:137], v[92:93], v[2:3], -v[0:1]
	v_mul_f64_e32 v[0:1], v[92:93], v[4:5]
	s_delay_alu instid0(VALU_DEP_1) | instskip(SKIP_3) | instid1(VALU_DEP_1)
	v_fma_f64 v[138:139], v[94:95], v[2:3], v[0:1]
	v_mul_u32_u24_e32 v0, 0xcccd, v163
	ds_load_b128 v[92:95], v230 offset:10000
	v_lshrrev_b32_e32 v167, 18, v0
	v_mul_lo_u16 v0, v167, 5
	s_delay_alu instid0(VALU_DEP_1) | instskip(NEXT) | instid1(VALU_DEP_1)
	v_sub_nc_u16 v168, v161, v0
	v_lshlrev_b16 v0, 2, v168
	s_delay_alu instid0(VALU_DEP_1) | instskip(NEXT) | instid1(VALU_DEP_1)
	v_and_b32_e32 v0, 0xffff, v0
	v_lshlrev_b32_e32 v2, 4, v0
	global_load_b128 v[3:6], v2, s[10:11]
	s_wait_loadcnt_dscnt 0x0
	v_mul_f64_e32 v[0:1], v[94:95], v[5:6]
	scratch_store_b128 off, v[3:6], off offset:376 ; 16-byte Folded Spill
	v_fma_f64 v[110:111], v[92:93], v[3:4], -v[0:1]
	v_mul_f64_e32 v[0:1], v[92:93], v[5:6]
	s_delay_alu instid0(VALU_DEP_1)
	v_fma_f64 v[108:109], v[94:95], v[3:4], v[0:1]
	global_load_b128 v[3:6], v2, s[10:11] offset:16
	ds_load_b128 v[92:95], v230 offset:16000
	s_wait_loadcnt_dscnt 0x0
	v_mul_f64_e32 v[0:1], v[94:95], v[5:6]
	scratch_store_b128 off, v[3:6], off offset:392 ; 16-byte Folded Spill
	v_fma_f64 v[112:113], v[92:93], v[3:4], -v[0:1]
	v_mul_f64_e32 v[0:1], v[92:93], v[5:6]
	s_delay_alu instid0(VALU_DEP_1)
	v_fma_f64 v[114:115], v[94:95], v[3:4], v[0:1]
	global_load_b128 v[3:6], v2, s[10:11] offset:32
	ds_load_b128 v[92:95], v230 offset:22000
	s_wait_loadcnt_dscnt 0x0
	v_mul_f64_e32 v[0:1], v[94:95], v[5:6]
	scratch_store_b128 off, v[3:6], off offset:424 ; 16-byte Folded Spill
	v_fma_f64 v[116:117], v[92:93], v[3:4], -v[0:1]
	v_mul_f64_e32 v[0:1], v[92:93], v[5:6]
	v_add_f64_e32 v[6:7], v[146:147], v[148:149]
	s_delay_alu instid0(VALU_DEP_2)
	v_fma_f64 v[118:119], v[94:95], v[3:4], v[0:1]
	global_load_b128 v[2:5], v2, s[10:11] offset:48
	s_wait_loadcnt 0x0
	v_mul_f64_e32 v[0:1], v[171:172], v[4:5]
	scratch_store_b128 off, v[2:5], off offset:408 ; 16-byte Folded Spill
	v_fma_f64 v[120:121], v[169:170], v[2:3], -v[0:1]
	v_mul_f64_e32 v[0:1], v[169:170], v[4:5]
	v_add_f64_e64 v[4:5], v[154:155], -v[148:149]
	s_delay_alu instid0(VALU_DEP_2)
	v_fma_f64 v[122:123], v[171:172], v[2:3], v[0:1]
	v_add_f64_e64 v[0:1], v[142:143], -v[144:145]
	v_add_f64_e64 v[2:3], v[152:153], -v[150:151]
	ds_load_b128 v[169:172], v230
	s_wait_dscnt 0x0
	v_fma_f64 v[6:7], v[6:7], -0.5, v[171:172]
	v_add_f64_e32 v[0:1], v[0:1], v[2:3]
	v_add_f64_e64 v[2:3], v[140:141], -v[146:147]
	s_delay_alu instid0(VALU_DEP_3) | instskip(SKIP_1) | instid1(VALU_DEP_3)
	v_fma_f64 v[18:19], v[14:15], s[18:19], v[6:7]
	v_fma_f64 v[6:7], v[14:15], s[16:17], v[6:7]
	v_add_f64_e32 v[2:3], v[2:3], v[4:5]
	v_add_f64_e32 v[4:5], v[144:145], v[150:151]
	s_delay_alu instid0(VALU_DEP_4) | instskip(NEXT) | instid1(VALU_DEP_4)
	v_fma_f64 v[18:19], v[16:17], s[12:13], v[18:19]
	v_fma_f64 v[6:7], v[16:17], s[2:3], v[6:7]
	s_delay_alu instid0(VALU_DEP_3) | instskip(NEXT) | instid1(VALU_DEP_3)
	v_fma_f64 v[4:5], v[4:5], -0.5, v[169:170]
	v_fma_f64 v[175:176], v[2:3], s[14:15], v[18:19]
	s_delay_alu instid0(VALU_DEP_3)
	v_fma_f64 v[179:180], v[2:3], s[14:15], v[6:7]
	v_add_f64_e32 v[6:7], v[171:172], v[140:141]
	v_add_f64_e32 v[2:3], v[140:141], v[154:155]
	v_add_f64_e64 v[18:19], v[146:147], -v[140:141]
	v_fma_f64 v[12:13], v[8:9], s[16:17], v[4:5]
	v_fma_f64 v[4:5], v[8:9], s[18:19], v[4:5]
	v_add_f64_e32 v[6:7], v[6:7], v[146:147]
	v_fma_f64 v[2:3], v[2:3], -0.5, v[171:172]
	s_delay_alu instid0(VALU_DEP_4) | instskip(NEXT) | instid1(VALU_DEP_4)
	v_fma_f64 v[12:13], v[10:11], s[2:3], v[12:13]
	v_fma_f64 v[4:5], v[10:11], s[12:13], v[4:5]
	s_delay_alu instid0(VALU_DEP_4) | instskip(NEXT) | instid1(VALU_DEP_3)
	v_add_f64_e32 v[6:7], v[6:7], v[148:149]
	v_fma_f64 v[173:174], v[0:1], s[14:15], v[12:13]
	s_delay_alu instid0(VALU_DEP_3) | instskip(SKIP_4) | instid1(VALU_DEP_4)
	v_fma_f64 v[177:178], v[0:1], s[14:15], v[4:5]
	v_add_f64_e32 v[4:5], v[169:170], v[142:143]
	v_add_f64_e32 v[0:1], v[142:143], v[152:153]
	v_add_f64_e64 v[12:13], v[144:145], -v[142:143]
	v_add_f64_e32 v[142:143], v[6:7], v[154:155]
	v_add_f64_e32 v[4:5], v[4:5], v[144:145]
	s_delay_alu instid0(VALU_DEP_4) | instskip(NEXT) | instid1(VALU_DEP_4)
	v_fma_f64 v[0:1], v[0:1], -0.5, v[169:170]
	v_add_f64_e32 v[12:13], v[12:13], v[20:21]
	v_add_f64_e64 v[20:21], v[134:135], -v[136:137]
	s_delay_alu instid0(VALU_DEP_4) | instskip(NEXT) | instid1(VALU_DEP_4)
	v_add_f64_e32 v[4:5], v[4:5], v[150:151]
	v_fma_f64 v[6:7], v[10:11], s[18:19], v[0:1]
	v_fma_f64 v[0:1], v[10:11], s[16:17], v[0:1]
	;; [unrolled: 1-line block ×4, first 2 shown]
	v_add_f64_e64 v[16:17], v[128:129], -v[134:135]
	v_add_f64_e32 v[140:141], v[4:5], v[152:153]
	v_add_f64_e64 v[4:5], v[148:149], -v[154:155]
	v_fma_f64 v[0:1], v[8:9], s[12:13], v[0:1]
	v_fma_f64 v[6:7], v[8:9], s[2:3], v[6:7]
	;; [unrolled: 1-line block ×4, first 2 shown]
	ds_load_b128 v[152:155], v230 offset:2000
	v_add_f64_e64 v[14:15], v[126:127], -v[136:137]
	v_add_f64_e64 v[10:11], v[130:131], -v[132:133]
	v_add_f64_e32 v[4:5], v[18:19], v[4:5]
	v_fma_f64 v[148:149], v[12:13], s[14:15], v[0:1]
	v_add_f64_e64 v[0:1], v[126:127], -v[128:129]
	v_fma_f64 v[144:145], v[12:13], s[14:15], v[6:7]
	v_add_f64_e32 v[6:7], v[130:131], v[132:133]
	v_fma_f64 v[150:151], v[4:5], s[14:15], v[2:3]
	v_add_f64_e64 v[2:3], v[136:137], -v[134:135]
	v_fma_f64 v[146:147], v[4:5], s[14:15], v[8:9]
	v_add_f64_e64 v[4:5], v[138:139], -v[132:133]
	s_wait_dscnt 0x0
	v_fma_f64 v[6:7], v[6:7], -0.5, v[154:155]
	v_add_f64_e64 v[8:9], v[124:125], -v[138:139]
	v_add_f64_e32 v[0:1], v[0:1], v[2:3]
	v_add_f64_e64 v[2:3], v[124:125], -v[130:131]
	s_delay_alu instid0(VALU_DEP_4) | instskip(SKIP_1) | instid1(VALU_DEP_3)
	v_fma_f64 v[18:19], v[14:15], s[18:19], v[6:7]
	v_fma_f64 v[6:7], v[14:15], s[16:17], v[6:7]
	v_add_f64_e32 v[2:3], v[2:3], v[4:5]
	v_add_f64_e32 v[4:5], v[128:129], v[134:135]
	s_delay_alu instid0(VALU_DEP_4) | instskip(NEXT) | instid1(VALU_DEP_4)
	v_fma_f64 v[18:19], v[16:17], s[12:13], v[18:19]
	v_fma_f64 v[6:7], v[16:17], s[2:3], v[6:7]
	s_delay_alu instid0(VALU_DEP_3) | instskip(NEXT) | instid1(VALU_DEP_3)
	v_fma_f64 v[4:5], v[4:5], -0.5, v[152:153]
	v_fma_f64 v[171:172], v[2:3], s[14:15], v[18:19]
	s_delay_alu instid0(VALU_DEP_3)
	v_fma_f64 v[183:184], v[2:3], s[14:15], v[6:7]
	v_add_f64_e32 v[6:7], v[154:155], v[124:125]
	v_add_f64_e32 v[2:3], v[124:125], v[138:139]
	v_add_f64_e64 v[18:19], v[130:131], -v[124:125]
	v_fma_f64 v[12:13], v[8:9], s[16:17], v[4:5]
	v_fma_f64 v[4:5], v[8:9], s[18:19], v[4:5]
	v_add_f64_e32 v[6:7], v[6:7], v[130:131]
	v_fma_f64 v[2:3], v[2:3], -0.5, v[154:155]
	s_delay_alu instid0(VALU_DEP_4) | instskip(NEXT) | instid1(VALU_DEP_4)
	v_fma_f64 v[12:13], v[10:11], s[2:3], v[12:13]
	v_fma_f64 v[4:5], v[10:11], s[12:13], v[4:5]
	s_delay_alu instid0(VALU_DEP_4) | instskip(NEXT) | instid1(VALU_DEP_3)
	v_add_f64_e32 v[6:7], v[6:7], v[132:133]
	v_fma_f64 v[169:170], v[0:1], s[14:15], v[12:13]
	s_delay_alu instid0(VALU_DEP_3) | instskip(SKIP_4) | instid1(VALU_DEP_4)
	v_fma_f64 v[181:182], v[0:1], s[14:15], v[4:5]
	v_add_f64_e32 v[4:5], v[152:153], v[126:127]
	v_add_f64_e32 v[0:1], v[126:127], v[136:137]
	v_add_f64_e64 v[12:13], v[128:129], -v[126:127]
	v_add_f64_e32 v[126:127], v[6:7], v[138:139]
	v_add_f64_e32 v[4:5], v[4:5], v[128:129]
	s_delay_alu instid0(VALU_DEP_4) | instskip(NEXT) | instid1(VALU_DEP_4)
	v_fma_f64 v[0:1], v[0:1], -0.5, v[152:153]
	v_add_f64_e32 v[12:13], v[12:13], v[20:21]
	v_add_f64_e64 v[20:21], v[120:121], -v[116:117]
	s_delay_alu instid0(VALU_DEP_4) | instskip(NEXT) | instid1(VALU_DEP_4)
	v_add_f64_e32 v[4:5], v[4:5], v[134:135]
	v_fma_f64 v[6:7], v[10:11], s[18:19], v[0:1]
	v_fma_f64 v[0:1], v[10:11], s[16:17], v[0:1]
	;; [unrolled: 1-line block ×4, first 2 shown]
	v_add_f64_e64 v[16:17], v[110:111], -v[120:121]
	v_add_f64_e32 v[124:125], v[4:5], v[136:137]
	v_add_f64_e64 v[4:5], v[132:133], -v[138:139]
	v_fma_f64 v[0:1], v[8:9], s[12:13], v[0:1]
	v_fma_f64 v[6:7], v[8:9], s[2:3], v[6:7]
	;; [unrolled: 1-line block ×4, first 2 shown]
	ds_load_b128 v[136:139], v230 offset:4000
	v_add_f64_e64 v[14:15], v[112:113], -v[116:117]
	v_add_f64_e64 v[10:11], v[108:109], -v[122:123]
	global_wb scope:SCOPE_SE
	s_wait_storecnt_dscnt 0x0
	s_barrier_signal -1
	s_barrier_wait -1
	global_inv scope:SCOPE_SE
	v_add_f64_e32 v[4:5], v[18:19], v[4:5]
	v_fma_f64 v[132:133], v[12:13], s[14:15], v[0:1]
	v_add_f64_e64 v[0:1], v[112:113], -v[110:111]
	v_fma_f64 v[128:129], v[12:13], s[14:15], v[6:7]
	v_add_f64_e32 v[6:7], v[108:109], v[122:123]
	v_fma_f64 v[134:135], v[4:5], s[14:15], v[2:3]
	v_add_f64_e64 v[2:3], v[116:117], -v[120:121]
	v_fma_f64 v[130:131], v[4:5], s[14:15], v[8:9]
	v_add_f64_e64 v[4:5], v[118:119], -v[122:123]
	v_fma_f64 v[6:7], v[6:7], -0.5, v[138:139]
	v_add_f64_e64 v[8:9], v[114:115], -v[118:119]
	v_add_f64_e32 v[0:1], v[0:1], v[2:3]
	v_add_f64_e64 v[2:3], v[114:115], -v[108:109]
	s_delay_alu instid0(VALU_DEP_4) | instskip(SKIP_1) | instid1(VALU_DEP_3)
	v_fma_f64 v[18:19], v[14:15], s[16:17], v[6:7]
	v_fma_f64 v[6:7], v[14:15], s[18:19], v[6:7]
	v_add_f64_e32 v[2:3], v[2:3], v[4:5]
	v_add_f64_e32 v[4:5], v[110:111], v[120:121]
	s_delay_alu instid0(VALU_DEP_4) | instskip(NEXT) | instid1(VALU_DEP_4)
	v_fma_f64 v[18:19], v[16:17], s[12:13], v[18:19]
	v_fma_f64 v[6:7], v[16:17], s[2:3], v[6:7]
	s_delay_alu instid0(VALU_DEP_3) | instskip(NEXT) | instid1(VALU_DEP_3)
	v_fma_f64 v[4:5], v[4:5], -0.5, v[136:137]
	v_fma_f64 v[154:155], v[2:3], s[14:15], v[18:19]
	s_delay_alu instid0(VALU_DEP_3)
	v_fma_f64 v[187:188], v[2:3], s[14:15], v[6:7]
	v_add_f64_e32 v[6:7], v[138:139], v[108:109]
	v_add_f64_e32 v[2:3], v[114:115], v[118:119]
	v_add_f64_e64 v[18:19], v[108:109], -v[114:115]
	v_fma_f64 v[12:13], v[8:9], s[18:19], v[4:5]
	v_fma_f64 v[4:5], v[8:9], s[16:17], v[4:5]
	v_add_f64_e32 v[6:7], v[6:7], v[114:115]
	v_fma_f64 v[2:3], v[2:3], -0.5, v[138:139]
	s_delay_alu instid0(VALU_DEP_4) | instskip(NEXT) | instid1(VALU_DEP_4)
	v_fma_f64 v[12:13], v[10:11], s[2:3], v[12:13]
	v_fma_f64 v[4:5], v[10:11], s[12:13], v[4:5]
	s_delay_alu instid0(VALU_DEP_4) | instskip(NEXT) | instid1(VALU_DEP_3)
	v_add_f64_e32 v[6:7], v[6:7], v[118:119]
	v_fma_f64 v[152:153], v[0:1], s[14:15], v[12:13]
	s_delay_alu instid0(VALU_DEP_3) | instskip(SKIP_4) | instid1(VALU_DEP_4)
	v_fma_f64 v[185:186], v[0:1], s[14:15], v[4:5]
	v_add_f64_e32 v[4:5], v[136:137], v[110:111]
	v_add_f64_e32 v[0:1], v[112:113], v[116:117]
	v_add_f64_e64 v[12:13], v[110:111], -v[112:113]
	v_add_f64_e32 v[110:111], v[6:7], v[122:123]
	v_add_f64_e32 v[4:5], v[4:5], v[112:113]
	s_delay_alu instid0(VALU_DEP_4) | instskip(NEXT) | instid1(VALU_DEP_4)
	v_fma_f64 v[0:1], v[0:1], -0.5, v[136:137]
	v_add_f64_e32 v[12:13], v[12:13], v[20:21]
	s_delay_alu instid0(VALU_DEP_3) | instskip(NEXT) | instid1(VALU_DEP_3)
	v_add_f64_e32 v[4:5], v[4:5], v[116:117]
	v_fma_f64 v[6:7], v[10:11], s[16:17], v[0:1]
	v_fma_f64 v[0:1], v[10:11], s[18:19], v[0:1]
	;; [unrolled: 1-line block ×4, first 2 shown]
	v_mul_lo_u16 v16, v158, 41
	v_add_f64_e32 v[108:109], v[4:5], v[120:121]
	v_add_f64_e64 v[4:5], v[122:123], -v[118:119]
	v_fma_f64 v[0:1], v[8:9], s[12:13], v[0:1]
	v_fma_f64 v[6:7], v[8:9], s[2:3], v[6:7]
	;; [unrolled: 1-line block ×4, first 2 shown]
	v_add_f64_e32 v[4:5], v[18:19], v[4:5]
	v_fma_f64 v[116:117], v[12:13], s[14:15], v[0:1]
	v_and_b32_e32 v0, 0xffff, v166
	v_fma_f64 v[112:113], v[12:13], s[14:15], v[6:7]
	s_delay_alu instid0(VALU_DEP_2) | instskip(NEXT) | instid1(VALU_DEP_1)
	v_mul_u32_u24_e32 v0, 25, v0
	v_add_nc_u32_e32 v0, v0, v159
	s_delay_alu instid0(VALU_DEP_1)
	v_lshl_add_u32 v240, v0, 4, v160
	v_and_b32_e32 v0, 0xffff, v164
	ds_store_b128 v240, v[140:143]
	ds_store_b128 v240, v[173:176] offset:80
	ds_store_b128 v240, v[144:147] offset:160
	;; [unrolled: 1-line block ×4, first 2 shown]
	v_mul_u32_u24_e32 v0, 25, v0
	s_delay_alu instid0(VALU_DEP_1) | instskip(NEXT) | instid1(VALU_DEP_1)
	v_add_nc_u32_e32 v0, v0, v165
	v_lshl_add_u32 v228, v0, 4, v160
	v_mad_u16 v0, v167, 25, v168
	ds_store_b128 v228, v[124:127]
	ds_store_b128 v228, v[169:172] offset:80
	ds_store_b128 v228, v[128:131] offset:160
	;; [unrolled: 1-line block ×4, first 2 shown]
	v_fma_f64 v[114:115], v[4:5], s[14:15], v[8:9]
	v_and_b32_e32 v0, 0xffff, v0
	v_fma_f64 v[118:119], v[4:5], s[14:15], v[2:3]
	v_lshrrev_b16 v128, 10, v16
	v_lshrrev_b16 v130, 4, v32
	s_delay_alu instid0(VALU_DEP_4)
	v_lshl_add_u32 v254, v0, 4, v160
	v_mul_lo_u16 v0, v157, 41
	ds_store_b128 v254, v[108:111]
	ds_store_b128 v254, v[112:115] offset:80
	ds_store_b128 v254, v[152:155] offset:160
	;; [unrolled: 1-line block ×4, first 2 shown]
	v_lshrrev_b16 v133, 10, v0
	global_wb scope:SCOPE_SE
	s_wait_dscnt 0x0
	s_barrier_signal -1
	s_barrier_wait -1
	global_inv scope:SCOPE_SE
	v_mul_lo_u16 v0, v133, 25
	v_mul_lo_u16 v16, v128, 25
	ds_load_b128 v[108:111], v230 offset:6000
	ds_load_b128 v[200:203], v230 offset:4000
	v_mul_lo_u16 v32, v130, 25
	v_sub_nc_u16 v0, v156, v0
	v_sub_nc_u16 v16, v162, v16
	ds_load_b128 v[120:123], v230
	ds_load_b128 v[172:175], v230 offset:2000
	v_sub_nc_u16 v131, v161, v32
	v_and_b32_e32 v132, 0xff, v0
	v_and_b32_e32 v129, 0xff, v16
	s_delay_alu instid0(VALU_DEP_3) | instskip(NEXT) | instid1(VALU_DEP_3)
	v_lshlrev_b16 v32, 6, v131
	v_lshlrev_b32_e32 v12, 6, v132
	s_delay_alu instid0(VALU_DEP_3) | instskip(NEXT) | instid1(VALU_DEP_3)
	v_lshlrev_b32_e32 v28, 6, v129
	v_and_b32_e32 v32, 0xffff, v32
	s_clause 0x7
	global_load_b128 v[236:239], v12, s[10:11] offset:320
	global_load_b128 v[140:143], v12, s[10:11] offset:336
	;; [unrolled: 1-line block ×8, first 2 shown]
	v_add_co_u32 v32, s20, s10, v32
	s_delay_alu instid0(VALU_DEP_1)
	v_add_co_ci_u32_e64 v33, null, s11, 0, s20
	s_clause 0x3
	global_load_b128 v[180:183], v[32:33], off offset:320
	global_load_b128 v[184:187], v[32:33], off offset:336
	;; [unrolled: 1-line block ×4, first 2 shown]
	s_wait_loadcnt_dscnt 0xb03
	v_mul_f64_e32 v[0:1], v[110:111], v[238:239]
	v_mul_f64_e32 v[2:3], v[108:109], v[238:239]
	s_delay_alu instid0(VALU_DEP_2) | instskip(NEXT) | instid1(VALU_DEP_2)
	v_fma_f64 v[0:1], v[108:109], v[236:237], -v[0:1]
	v_fma_f64 v[2:3], v[110:111], v[236:237], v[2:3]
	ds_load_b128 v[108:111], v230 offset:12000
	s_wait_loadcnt_dscnt 0xa00
	v_mul_f64_e32 v[4:5], v[110:111], v[142:143]
	v_mul_f64_e32 v[6:7], v[108:109], v[142:143]
	s_delay_alu instid0(VALU_DEP_2) | instskip(NEXT) | instid1(VALU_DEP_2)
	v_fma_f64 v[4:5], v[108:109], v[140:141], -v[4:5]
	v_fma_f64 v[6:7], v[110:111], v[140:141], v[6:7]
	ds_load_b128 v[108:111], v230 offset:18000
	s_wait_loadcnt_dscnt 0x900
	v_mul_f64_e32 v[8:9], v[110:111], v[138:139]
	v_mul_f64_e32 v[10:11], v[108:109], v[138:139]
	v_add_f64_e64 v[48:49], v[0:1], -v[4:5]
	s_delay_alu instid0(VALU_DEP_3) | instskip(NEXT) | instid1(VALU_DEP_3)
	v_fma_f64 v[8:9], v[108:109], v[136:137], -v[8:9]
	v_fma_f64 v[10:11], v[110:111], v[136:137], v[10:11]
	ds_load_b128 v[108:111], v230 offset:24000
	s_wait_loadcnt_dscnt 0x800
	v_mul_f64_e32 v[12:13], v[110:111], v[150:151]
	v_mul_f64_e32 v[14:15], v[108:109], v[150:151]
	v_add_f64_e64 v[126:127], v[4:5], -v[8:9]
	v_add_f64_e32 v[54:55], v[6:7], v[10:11]
	v_add_f64_e64 v[58:59], v[6:7], -v[10:11]
	v_fma_f64 v[12:13], v[108:109], v[148:149], -v[12:13]
	v_fma_f64 v[14:15], v[110:111], v[148:149], v[14:15]
	ds_load_b128 v[108:111], v230 offset:8000
	v_fma_f64 v[54:55], v[54:55], -0.5, v[122:123]
	s_wait_loadcnt_dscnt 0x700
	v_mul_f64_e32 v[16:17], v[110:111], v[158:159]
	v_mul_f64_e32 v[18:19], v[108:109], v[158:159]
	v_add_f64_e64 v[50:51], v[12:13], -v[8:9]
	v_add_f64_e64 v[52:53], v[14:15], -v[10:11]
	;; [unrolled: 1-line block ×4, first 2 shown]
	v_fma_f64 v[16:17], v[108:109], v[156:157], -v[16:17]
	v_fma_f64 v[18:19], v[110:111], v[156:157], v[18:19]
	ds_load_b128 v[108:111], v230 offset:14000
	v_add_f64_e32 v[48:49], v[48:49], v[50:51]
	v_add_f64_e64 v[50:51], v[2:3], -v[6:7]
	s_wait_loadcnt_dscnt 0x600
	v_mul_f64_e32 v[20:21], v[110:111], v[154:155]
	v_mul_f64_e32 v[22:23], v[108:109], v[154:155]
	s_delay_alu instid0(VALU_DEP_3) | instskip(SKIP_1) | instid1(VALU_DEP_4)
	v_add_f64_e32 v[50:51], v[50:51], v[52:53]
	v_add_f64_e32 v[52:53], v[4:5], v[8:9]
	v_fma_f64 v[20:21], v[108:109], v[152:153], -v[20:21]
	s_delay_alu instid0(VALU_DEP_4)
	v_fma_f64 v[22:23], v[110:111], v[152:153], v[22:23]
	ds_load_b128 v[108:111], v230 offset:20000
	s_wait_loadcnt_dscnt 0x500
	v_mul_f64_e32 v[24:25], v[110:111], v[166:167]
	v_mul_f64_e32 v[26:27], v[108:109], v[166:167]
	v_fma_f64 v[52:53], v[52:53], -0.5, v[120:121]
	s_delay_alu instid0(VALU_DEP_3) | instskip(NEXT) | instid1(VALU_DEP_3)
	v_fma_f64 v[24:25], v[108:109], v[164:165], -v[24:25]
	v_fma_f64 v[26:27], v[110:111], v[164:165], v[26:27]
	ds_load_b128 v[108:111], v230 offset:26000
	s_wait_loadcnt_dscnt 0x400
	v_mul_f64_e32 v[28:29], v[110:111], v[170:171]
	v_mul_f64_e32 v[30:31], v[108:109], v[170:171]
	s_delay_alu instid0(VALU_DEP_2) | instskip(NEXT) | instid1(VALU_DEP_2)
	v_fma_f64 v[28:29], v[108:109], v[168:169], -v[28:29]
	v_fma_f64 v[30:31], v[110:111], v[168:169], v[30:31]
	ds_load_b128 v[108:111], v230 offset:10000
	s_wait_loadcnt_dscnt 0x300
	v_mul_f64_e32 v[34:35], v[110:111], v[182:183]
	v_mul_f64_e32 v[36:37], v[108:109], v[182:183]
	s_delay_alu instid0(VALU_DEP_2) | instskip(NEXT) | instid1(VALU_DEP_2)
	;; [unrolled: 7-line block ×4, first 2 shown]
	v_fma_f64 v[42:43], v[108:109], v[208:209], -v[42:43]
	v_fma_f64 v[44:45], v[110:111], v[208:209], v[44:45]
	ds_load_b128 v[108:111], v230 offset:28000
	global_wb scope:SCOPE_SE
	s_wait_loadcnt_dscnt 0x0
	s_barrier_signal -1
	s_barrier_wait -1
	global_inv scope:SCOPE_SE
	v_mul_f64_e32 v[32:33], v[110:111], v[214:215]
	v_mul_f64_e32 v[46:47], v[108:109], v[214:215]
	s_delay_alu instid0(VALU_DEP_2) | instskip(NEXT) | instid1(VALU_DEP_2)
	v_fma_f64 v[32:33], v[108:109], v[212:213], -v[32:33]
	v_fma_f64 v[46:47], v[110:111], v[212:213], v[46:47]
	v_fma_f64 v[108:109], v[56:57], s[16:17], v[52:53]
	v_fma_f64 v[110:111], v[124:125], s[18:19], v[54:55]
	v_fma_f64 v[52:53], v[56:57], s[18:19], v[52:53]
	v_fma_f64 v[54:55], v[124:125], s[16:17], v[54:55]
	s_delay_alu instid0(VALU_DEP_4) | instskip(NEXT) | instid1(VALU_DEP_4)
	v_fma_f64 v[108:109], v[58:59], s[2:3], v[108:109]
	v_fma_f64 v[110:111], v[126:127], s[12:13], v[110:111]
	s_delay_alu instid0(VALU_DEP_4) | instskip(NEXT) | instid1(VALU_DEP_4)
	v_fma_f64 v[52:53], v[58:59], s[12:13], v[52:53]
	v_fma_f64 v[54:55], v[126:127], s[2:3], v[54:55]
	;; [unrolled: 3-line block ×4, first 2 shown]
	v_add_f64_e32 v[52:53], v[120:121], v[0:1]
	v_add_f64_e32 v[54:55], v[122:123], v[2:3]
	;; [unrolled: 1-line block ×4, first 2 shown]
	v_add_f64_e64 v[0:1], v[4:5], -v[0:1]
	v_add_f64_e64 v[2:3], v[6:7], -v[2:3]
	v_add_f64_e32 v[4:5], v[52:53], v[4:5]
	v_add_f64_e32 v[52:53], v[54:55], v[6:7]
	v_fma_f64 v[48:49], v[48:49], -0.5, v[120:121]
	v_fma_f64 v[50:51], v[50:51], -0.5, v[122:123]
	s_delay_alu instid0(VALU_DEP_4) | instskip(NEXT) | instid1(VALU_DEP_4)
	v_add_f64_e32 v[4:5], v[4:5], v[8:9]
	v_add_f64_e32 v[6:7], v[52:53], v[10:11]
	v_add_f64_e64 v[8:9], v[8:9], -v[12:13]
	s_delay_alu instid0(VALU_DEP_3) | instskip(NEXT) | instid1(VALU_DEP_3)
	v_add_f64_e32 v[120:121], v[4:5], v[12:13]
	v_add_f64_e32 v[122:123], v[6:7], v[14:15]
	v_add_f64_e64 v[4:5], v[10:11], -v[14:15]
	v_fma_f64 v[6:7], v[58:59], s[18:19], v[48:49]
	v_fma_f64 v[10:11], v[58:59], s[16:17], v[48:49]
	;; [unrolled: 1-line block ×4, first 2 shown]
	v_add_f64_e32 v[0:1], v[0:1], v[8:9]
	v_add_f64_e64 v[48:49], v[20:21], -v[24:25]
	v_add_f64_e32 v[2:3], v[2:3], v[4:5]
	v_fma_f64 v[4:5], v[56:57], s[2:3], v[6:7]
	v_fma_f64 v[6:7], v[56:57], s[12:13], v[10:11]
	;; [unrolled: 1-line block ×4, first 2 shown]
	v_add_f64_e64 v[14:15], v[16:17], -v[28:29]
	v_fma_f64 v[124:125], v[0:1], s[14:15], v[4:5]
	v_fma_f64 v[144:145], v[0:1], s[14:15], v[6:7]
	;; [unrolled: 1-line block ×4, first 2 shown]
	v_add_f64_e64 v[0:1], v[16:17], -v[20:21]
	v_add_f64_e64 v[2:3], v[28:29], -v[24:25]
	;; [unrolled: 1-line block ×3, first 2 shown]
	v_add_f64_e32 v[6:7], v[22:23], v[26:27]
	v_add_f64_e64 v[8:9], v[18:19], -v[30:31]
	v_add_f64_e64 v[10:11], v[22:23], -v[26:27]
	v_add_f64_e32 v[0:1], v[0:1], v[2:3]
	v_add_f64_e64 v[2:3], v[18:19], -v[22:23]
	v_fma_f64 v[6:7], v[6:7], -0.5, v[174:175]
	s_delay_alu instid0(VALU_DEP_2) | instskip(SKIP_1) | instid1(VALU_DEP_3)
	v_add_f64_e32 v[2:3], v[2:3], v[4:5]
	v_add_f64_e32 v[4:5], v[20:21], v[24:25]
	v_fma_f64 v[50:51], v[14:15], s[18:19], v[6:7]
	v_fma_f64 v[6:7], v[14:15], s[16:17], v[6:7]
	s_delay_alu instid0(VALU_DEP_3) | instskip(NEXT) | instid1(VALU_DEP_3)
	v_fma_f64 v[4:5], v[4:5], -0.5, v[172:173]
	v_fma_f64 v[50:51], v[48:49], s[12:13], v[50:51]
	s_delay_alu instid0(VALU_DEP_3) | instskip(NEXT) | instid1(VALU_DEP_3)
	v_fma_f64 v[6:7], v[48:49], s[2:3], v[6:7]
	v_fma_f64 v[12:13], v[8:9], s[16:17], v[4:5]
	;; [unrolled: 1-line block ×3, first 2 shown]
	s_delay_alu instid0(VALU_DEP_3)
	v_fma_f64 v[190:191], v[2:3], s[14:15], v[6:7]
	v_add_f64_e32 v[6:7], v[174:175], v[18:19]
	v_fma_f64 v[178:179], v[2:3], s[14:15], v[50:51]
	v_add_f64_e32 v[2:3], v[18:19], v[30:31]
	v_fma_f64 v[12:13], v[10:11], s[2:3], v[12:13]
	v_fma_f64 v[4:5], v[10:11], s[12:13], v[4:5]
	v_add_f64_e32 v[6:7], v[6:7], v[22:23]
	s_delay_alu instid0(VALU_DEP_4) | instskip(NEXT) | instid1(VALU_DEP_4)
	v_fma_f64 v[2:3], v[2:3], -0.5, v[174:175]
	v_fma_f64 v[176:177], v[0:1], s[14:15], v[12:13]
	s_delay_alu instid0(VALU_DEP_4)
	v_fma_f64 v[188:189], v[0:1], s[14:15], v[4:5]
	v_add_f64_e32 v[4:5], v[172:173], v[16:17]
	v_add_f64_e32 v[0:1], v[16:17], v[28:29]
	;; [unrolled: 1-line block ×3, first 2 shown]
	v_add_f64_e64 v[12:13], v[20:21], -v[16:17]
	v_add_f64_e64 v[16:17], v[22:23], -v[18:19]
	;; [unrolled: 1-line block ×3, first 2 shown]
	v_add_f64_e32 v[4:5], v[4:5], v[20:21]
	v_fma_f64 v[0:1], v[0:1], -0.5, v[172:173]
	v_add_f64_e32 v[174:175], v[6:7], v[30:31]
	v_add_f64_e64 v[20:21], v[32:33], -v[42:43]
	v_add_f64_e32 v[12:13], v[12:13], v[18:19]
	v_add_f64_e32 v[4:5], v[4:5], v[24:25]
	v_fma_f64 v[6:7], v[10:11], s[18:19], v[0:1]
	v_fma_f64 v[0:1], v[10:11], s[16:17], v[0:1]
	;; [unrolled: 1-line block ×4, first 2 shown]
	v_add_f64_e32 v[172:173], v[4:5], v[28:29]
	v_add_f64_e64 v[4:5], v[26:27], -v[30:31]
	v_fma_f64 v[0:1], v[8:9], s[12:13], v[0:1]
	v_fma_f64 v[6:7], v[8:9], s[2:3], v[6:7]
	;; [unrolled: 1-line block ×4, first 2 shown]
	v_add_f64_e64 v[14:15], v[38:39], -v[42:43]
	v_add_f64_e64 v[10:11], v[36:37], -v[46:47]
	v_add_f64_e32 v[4:5], v[16:17], v[4:5]
	v_fma_f64 v[196:197], v[12:13], s[14:15], v[0:1]
	v_add_f64_e64 v[0:1], v[38:39], -v[34:35]
	v_fma_f64 v[192:193], v[12:13], s[14:15], v[6:7]
	v_add_f64_e32 v[6:7], v[36:37], v[46:47]
	v_add_f64_e64 v[16:17], v[34:35], -v[32:33]
	v_fma_f64 v[198:199], v[4:5], s[14:15], v[2:3]
	v_add_f64_e64 v[2:3], v[42:43], -v[32:33]
	v_fma_f64 v[194:195], v[4:5], s[14:15], v[8:9]
	v_add_f64_e64 v[4:5], v[44:45], -v[46:47]
	v_fma_f64 v[6:7], v[6:7], -0.5, v[202:203]
	v_add_f64_e64 v[8:9], v[40:41], -v[44:45]
	v_add_f64_e32 v[0:1], v[0:1], v[2:3]
	v_add_f64_e64 v[2:3], v[40:41], -v[36:37]
	s_delay_alu instid0(VALU_DEP_4) | instskip(SKIP_1) | instid1(VALU_DEP_3)
	v_fma_f64 v[18:19], v[14:15], s[16:17], v[6:7]
	v_fma_f64 v[6:7], v[14:15], s[18:19], v[6:7]
	v_add_f64_e32 v[2:3], v[2:3], v[4:5]
	v_add_f64_e32 v[4:5], v[34:35], v[32:33]
	s_delay_alu instid0(VALU_DEP_4) | instskip(NEXT) | instid1(VALU_DEP_4)
	v_fma_f64 v[18:19], v[16:17], s[12:13], v[18:19]
	v_fma_f64 v[6:7], v[16:17], s[2:3], v[6:7]
	s_delay_alu instid0(VALU_DEP_3) | instskip(NEXT) | instid1(VALU_DEP_3)
	v_fma_f64 v[4:5], v[4:5], -0.5, v[200:201]
	v_fma_f64 v[206:207], v[2:3], s[14:15], v[18:19]
	s_delay_alu instid0(VALU_DEP_3)
	v_fma_f64 v[218:219], v[2:3], s[14:15], v[6:7]
	v_add_f64_e32 v[6:7], v[200:201], v[34:35]
	v_add_f64_e32 v[2:3], v[40:41], v[44:45]
	v_add_f64_e64 v[18:19], v[34:35], -v[38:39]
	v_fma_f64 v[12:13], v[8:9], s[18:19], v[4:5]
	v_fma_f64 v[4:5], v[8:9], s[16:17], v[4:5]
	v_add_f64_e32 v[6:7], v[6:7], v[38:39]
	v_fma_f64 v[2:3], v[2:3], -0.5, v[202:203]
	s_delay_alu instid0(VALU_DEP_4) | instskip(NEXT) | instid1(VALU_DEP_4)
	v_fma_f64 v[12:13], v[10:11], s[2:3], v[12:13]
	v_fma_f64 v[4:5], v[10:11], s[12:13], v[4:5]
	s_delay_alu instid0(VALU_DEP_4) | instskip(NEXT) | instid1(VALU_DEP_3)
	v_add_f64_e32 v[6:7], v[6:7], v[42:43]
	v_fma_f64 v[204:205], v[0:1], s[14:15], v[12:13]
	s_delay_alu instid0(VALU_DEP_3) | instskip(SKIP_3) | instid1(VALU_DEP_3)
	v_fma_f64 v[216:217], v[0:1], s[14:15], v[4:5]
	v_add_f64_e32 v[4:5], v[202:203], v[36:37]
	v_add_f64_e32 v[0:1], v[38:39], v[42:43]
	v_add_f64_e64 v[12:13], v[36:37], -v[40:41]
	v_add_f64_e32 v[4:5], v[4:5], v[40:41]
	s_delay_alu instid0(VALU_DEP_3) | instskip(SKIP_2) | instid1(VALU_DEP_1)
	v_fma_f64 v[0:1], v[0:1], -0.5, v[200:201]
	v_add_f64_e32 v[200:201], v[6:7], v[32:33]
	v_mul_u32_u24_e32 v32, 0x625, v163
	v_lshrrev_b32_e32 v32, 16, v32
	s_delay_alu instid0(VALU_DEP_1) | instskip(NEXT) | instid1(VALU_DEP_1)
	v_sub_nc_u16 v33, v161, v32
	v_lshrrev_b16 v33, 1, v33
	s_delay_alu instid0(VALU_DEP_1) | instskip(NEXT) | instid1(VALU_DEP_1)
	v_add_nc_u16 v32, v33, v32
	v_lshrrev_b16 v32, 6, v32
	s_delay_alu instid0(VALU_DEP_1)
	v_mul_lo_u16 v32, 0x7d, v32
	v_add_f64_e32 v[4:5], v[4:5], v[44:45]
	v_fma_f64 v[6:7], v[10:11], s[16:17], v[0:1]
	v_fma_f64 v[0:1], v[10:11], s[18:19], v[0:1]
	;; [unrolled: 1-line block ×4, first 2 shown]
	v_add_f64_e32 v[16:17], v[18:19], v[20:21]
	v_sub_nc_u16 v60, v161, v32
	s_delay_alu instid0(VALU_DEP_1) | instskip(NEXT) | instid1(VALU_DEP_1)
	v_lshlrev_b16 v32, 6, v60
	v_and_b32_e32 v32, 0xffff, v32
	s_delay_alu instid0(VALU_DEP_1)
	v_add_co_u32 v32, s20, s10, v32
	s_wait_alu 0xf1ff
	v_add_co_ci_u32_e64 v33, null, s11, 0, s20
	v_add_f64_e32 v[202:203], v[4:5], v[46:47]
	v_add_f64_e64 v[4:5], v[46:47], -v[44:45]
	v_fma_f64 v[0:1], v[8:9], s[12:13], v[0:1]
	v_fma_f64 v[6:7], v[8:9], s[2:3], v[6:7]
	;; [unrolled: 1-line block ×4, first 2 shown]
	v_add_f64_e32 v[4:5], v[12:13], v[4:5]
	v_fma_f64 v[224:225], v[16:17], s[14:15], v[0:1]
	v_and_b32_e32 v0, 0xffff, v133
	v_fma_f64 v[220:221], v[16:17], s[14:15], v[6:7]
	v_lshlrev_b32_e32 v12, 6, v61
	s_delay_alu instid0(VALU_DEP_3) | instskip(NEXT) | instid1(VALU_DEP_1)
	v_mul_u32_u24_e32 v0, 0x7d, v0
	v_add_nc_u32_e32 v0, v0, v132
	s_delay_alu instid0(VALU_DEP_1)
	v_lshl_add_u32 v241, v0, 4, v160
	v_and_b32_e32 v0, 0xffff, v128
	ds_store_b128 v241, v[120:123]
	ds_store_b128 v241, v[108:111] offset:400
	ds_store_b128 v241, v[124:127] offset:800
	;; [unrolled: 1-line block ×4, first 2 shown]
	v_mul_u32_u24_e32 v0, 0x7d, v0
	s_delay_alu instid0(VALU_DEP_1) | instskip(NEXT) | instid1(VALU_DEP_1)
	v_add_nc_u32_e32 v0, v0, v129
	v_lshl_add_u32 v0, v0, 4, v160
	v_fma_f64 v[222:223], v[4:5], s[14:15], v[8:9]
	v_fma_f64 v[226:227], v[4:5], s[14:15], v[2:3]
	scratch_store_b32 off, v0, off offset:464 ; 4-byte Folded Spill
	ds_store_b128 v0, v[172:175]
	ds_store_b128 v0, v[176:179] offset:400
	ds_store_b128 v0, v[192:195] offset:800
	;; [unrolled: 1-line block ×4, first 2 shown]
	v_mad_u16 v0, 0x7d, v130, v131
	s_delay_alu instid0(VALU_DEP_1) | instskip(NEXT) | instid1(VALU_DEP_1)
	v_and_b32_e32 v0, 0xffff, v0
	v_lshl_add_u32 v255, v0, 4, v160
	ds_store_b128 v255, v[200:203]
	ds_store_b128 v255, v[220:223] offset:400
	ds_store_b128 v255, v[204:207] offset:800
	;; [unrolled: 1-line block ×4, first 2 shown]
	global_wb scope:SCOPE_SE
	s_wait_storecnt_dscnt 0x0
	s_barrier_signal -1
	s_barrier_wait -1
	global_inv scope:SCOPE_SE
	s_clause 0x3
	global_load_b128 v[120:123], v12, s[10:11] offset:1920
	global_load_b128 v[200:203], v12, s[10:11] offset:1936
	;; [unrolled: 1-line block ×4, first 2 shown]
	ds_load_b128 v[108:111], v230 offset:6000
	ds_load_b128 v[246:249], v230 offset:4000
	s_clause 0x3
	global_load_b128 v[204:207], v[32:33], off offset:1920
	global_load_b128 v[216:219], v[32:33], off offset:1936
	;; [unrolled: 1-line block ×4, first 2 shown]
	ds_load_b128 v[144:147], v230 offset:2000
	s_wait_loadcnt_dscnt 0x702
	v_mul_f64_e32 v[0:1], v[110:111], v[122:123]
	v_mul_f64_e32 v[2:3], v[108:109], v[122:123]
	s_delay_alu instid0(VALU_DEP_2) | instskip(NEXT) | instid1(VALU_DEP_2)
	v_fma_f64 v[0:1], v[108:109], v[120:121], -v[0:1]
	v_fma_f64 v[2:3], v[110:111], v[120:121], v[2:3]
	ds_load_b128 v[108:111], v230 offset:12000
	s_wait_loadcnt_dscnt 0x600
	v_mul_f64_e32 v[4:5], v[110:111], v[202:203]
	v_mul_f64_e32 v[6:7], v[108:109], v[202:203]
	s_delay_alu instid0(VALU_DEP_2) | instskip(NEXT) | instid1(VALU_DEP_2)
	v_fma_f64 v[4:5], v[108:109], v[200:201], -v[4:5]
	v_fma_f64 v[6:7], v[110:111], v[200:201], v[6:7]
	ds_load_b128 v[108:111], v230 offset:18000
	s_wait_loadcnt_dscnt 0x500
	v_mul_f64_e32 v[8:9], v[110:111], v[198:199]
	v_mul_f64_e32 v[10:11], v[108:109], v[198:199]
	v_add_f64_e64 v[48:49], v[0:1], -v[4:5]
	s_delay_alu instid0(VALU_DEP_3) | instskip(NEXT) | instid1(VALU_DEP_3)
	v_fma_f64 v[8:9], v[108:109], v[196:197], -v[8:9]
	v_fma_f64 v[10:11], v[110:111], v[196:197], v[10:11]
	ds_load_b128 v[108:111], v230 offset:24000
	s_wait_loadcnt_dscnt 0x400
	v_mul_f64_e32 v[12:13], v[110:111], v[194:195]
	v_mul_f64_e32 v[14:15], v[108:109], v[194:195]
	v_add_f64_e64 v[130:131], v[4:5], -v[8:9]
	v_add_f64_e32 v[54:55], v[6:7], v[10:11]
	v_add_f64_e64 v[58:59], v[6:7], -v[10:11]
	v_fma_f64 v[12:13], v[108:109], v[192:193], -v[12:13]
	v_fma_f64 v[14:15], v[110:111], v[192:193], v[14:15]
	ds_load_b128 v[108:111], v230 offset:8000
	s_wait_dscnt 0x0
	v_mul_f64_e32 v[16:17], v[110:111], v[122:123]
	v_mul_f64_e32 v[18:19], v[108:109], v[122:123]
	v_add_f64_e64 v[50:51], v[12:13], -v[8:9]
	v_add_f64_e64 v[52:53], v[14:15], -v[10:11]
	;; [unrolled: 1-line block ×4, first 2 shown]
	v_fma_f64 v[16:17], v[108:109], v[120:121], -v[16:17]
	v_fma_f64 v[18:19], v[110:111], v[120:121], v[18:19]
	ds_load_b128 v[108:111], v230 offset:14000
	v_add_f64_e32 v[48:49], v[48:49], v[50:51]
	v_add_f64_e64 v[50:51], v[2:3], -v[6:7]
	s_wait_dscnt 0x0
	v_mul_f64_e32 v[20:21], v[110:111], v[202:203]
	v_mul_f64_e32 v[22:23], v[108:109], v[202:203]
	s_delay_alu instid0(VALU_DEP_3) | instskip(SKIP_1) | instid1(VALU_DEP_4)
	v_add_f64_e32 v[50:51], v[50:51], v[52:53]
	v_add_f64_e32 v[52:53], v[4:5], v[8:9]
	v_fma_f64 v[20:21], v[108:109], v[200:201], -v[20:21]
	s_delay_alu instid0(VALU_DEP_4) | instskip(SKIP_4) | instid1(VALU_DEP_2)
	v_fma_f64 v[22:23], v[110:111], v[200:201], v[22:23]
	ds_load_b128 v[108:111], v230 offset:20000
	s_wait_dscnt 0x0
	v_mul_f64_e32 v[24:25], v[110:111], v[198:199]
	v_mul_f64_e32 v[26:27], v[108:109], v[198:199]
	v_fma_f64 v[24:25], v[108:109], v[196:197], -v[24:25]
	s_delay_alu instid0(VALU_DEP_2) | instskip(SKIP_4) | instid1(VALU_DEP_2)
	v_fma_f64 v[26:27], v[110:111], v[196:197], v[26:27]
	ds_load_b128 v[108:111], v230 offset:26000
	s_wait_dscnt 0x0
	v_mul_f64_e32 v[28:29], v[110:111], v[194:195]
	v_mul_f64_e32 v[30:31], v[108:109], v[194:195]
	v_fma_f64 v[28:29], v[108:109], v[192:193], -v[28:29]
	s_delay_alu instid0(VALU_DEP_2) | instskip(SKIP_4) | instid1(VALU_DEP_2)
	v_fma_f64 v[30:31], v[110:111], v[192:193], v[30:31]
	ds_load_b128 v[108:111], v230 offset:10000
	s_wait_loadcnt_dscnt 0x300
	v_mul_f64_e32 v[34:35], v[110:111], v[206:207]
	v_mul_f64_e32 v[36:37], v[108:109], v[206:207]
	v_fma_f64 v[34:35], v[108:109], v[204:205], -v[34:35]
	s_delay_alu instid0(VALU_DEP_2) | instskip(SKIP_4) | instid1(VALU_DEP_2)
	v_fma_f64 v[36:37], v[110:111], v[204:205], v[36:37]
	ds_load_b128 v[108:111], v230 offset:16000
	s_wait_loadcnt_dscnt 0x200
	;; [unrolled: 7-line block ×4, first 2 shown]
	v_mul_f64_e32 v[32:33], v[110:111], v[226:227]
	v_mul_f64_e32 v[46:47], v[108:109], v[226:227]
	v_fma_f64 v[32:33], v[108:109], v[224:225], -v[32:33]
	s_delay_alu instid0(VALU_DEP_2)
	v_fma_f64 v[46:47], v[110:111], v[224:225], v[46:47]
	ds_load_b128 v[108:111], v230
	global_wb scope:SCOPE_SE
	s_wait_dscnt 0x0
	s_barrier_signal -1
	s_barrier_wait -1
	global_inv scope:SCOPE_SE
	v_fma_f64 v[52:53], v[52:53], -0.5, v[108:109]
	v_fma_f64 v[54:55], v[54:55], -0.5, v[110:111]
	s_delay_alu instid0(VALU_DEP_2) | instskip(NEXT) | instid1(VALU_DEP_2)
	v_fma_f64 v[116:117], v[56:57], s[16:17], v[52:53]
	v_fma_f64 v[118:119], v[128:129], s[18:19], v[54:55]
	;; [unrolled: 1-line block ×4, first 2 shown]
	s_delay_alu instid0(VALU_DEP_4) | instskip(NEXT) | instid1(VALU_DEP_4)
	v_fma_f64 v[116:117], v[58:59], s[2:3], v[116:117]
	v_fma_f64 v[118:119], v[130:131], s[12:13], v[118:119]
	s_delay_alu instid0(VALU_DEP_4) | instskip(NEXT) | instid1(VALU_DEP_4)
	v_fma_f64 v[52:53], v[58:59], s[12:13], v[52:53]
	v_fma_f64 v[54:55], v[130:131], s[2:3], v[54:55]
	;; [unrolled: 3-line block ×4, first 2 shown]
	v_add_f64_e32 v[52:53], v[108:109], v[0:1]
	v_add_f64_e32 v[54:55], v[110:111], v[2:3]
	;; [unrolled: 1-line block ×4, first 2 shown]
	v_add_f64_e64 v[0:1], v[4:5], -v[0:1]
	v_add_f64_e64 v[2:3], v[6:7], -v[2:3]
	v_add_f64_e32 v[4:5], v[52:53], v[4:5]
	v_add_f64_e32 v[52:53], v[54:55], v[6:7]
	v_fma_f64 v[48:49], v[48:49], -0.5, v[108:109]
	v_fma_f64 v[50:51], v[50:51], -0.5, v[110:111]
	s_delay_alu instid0(VALU_DEP_4) | instskip(NEXT) | instid1(VALU_DEP_4)
	v_add_f64_e32 v[4:5], v[4:5], v[8:9]
	v_add_f64_e32 v[6:7], v[52:53], v[10:11]
	v_add_f64_e64 v[8:9], v[8:9], -v[12:13]
	s_delay_alu instid0(VALU_DEP_3) | instskip(NEXT) | instid1(VALU_DEP_3)
	v_add_f64_e32 v[108:109], v[4:5], v[12:13]
	v_add_f64_e32 v[110:111], v[6:7], v[14:15]
	v_add_f64_e64 v[4:5], v[10:11], -v[14:15]
	v_fma_f64 v[6:7], v[58:59], s[18:19], v[48:49]
	v_fma_f64 v[10:11], v[58:59], s[16:17], v[48:49]
	;; [unrolled: 1-line block ×4, first 2 shown]
	v_add_f64_e32 v[0:1], v[0:1], v[8:9]
	v_add_f64_e64 v[48:49], v[20:21], -v[24:25]
	v_add_f64_e32 v[2:3], v[2:3], v[4:5]
	v_fma_f64 v[4:5], v[56:57], s[2:3], v[6:7]
	v_fma_f64 v[6:7], v[56:57], s[12:13], v[10:11]
	;; [unrolled: 1-line block ×4, first 2 shown]
	v_add_f64_e64 v[14:15], v[16:17], -v[28:29]
	v_fma_f64 v[128:129], v[0:1], s[14:15], v[4:5]
	v_fma_f64 v[132:133], v[0:1], s[14:15], v[6:7]
	v_fma_f64 v[130:131], v[2:3], s[14:15], v[8:9]
	v_fma_f64 v[134:135], v[2:3], s[14:15], v[10:11]
	v_add_f64_e64 v[0:1], v[16:17], -v[20:21]
	v_add_f64_e64 v[2:3], v[28:29], -v[24:25]
	;; [unrolled: 1-line block ×3, first 2 shown]
	v_add_f64_e32 v[6:7], v[22:23], v[26:27]
	v_add_f64_e64 v[8:9], v[18:19], -v[30:31]
	v_add_f64_e64 v[10:11], v[22:23], -v[26:27]
	v_add_f64_e32 v[0:1], v[0:1], v[2:3]
	v_add_f64_e64 v[2:3], v[18:19], -v[22:23]
	v_fma_f64 v[6:7], v[6:7], -0.5, v[146:147]
	s_delay_alu instid0(VALU_DEP_2) | instskip(SKIP_1) | instid1(VALU_DEP_3)
	v_add_f64_e32 v[2:3], v[2:3], v[4:5]
	v_add_f64_e32 v[4:5], v[20:21], v[24:25]
	v_fma_f64 v[50:51], v[14:15], s[18:19], v[6:7]
	v_fma_f64 v[6:7], v[14:15], s[16:17], v[6:7]
	s_delay_alu instid0(VALU_DEP_3) | instskip(NEXT) | instid1(VALU_DEP_3)
	v_fma_f64 v[4:5], v[4:5], -0.5, v[144:145]
	v_fma_f64 v[50:51], v[48:49], s[12:13], v[50:51]
	s_delay_alu instid0(VALU_DEP_3) | instskip(NEXT) | instid1(VALU_DEP_3)
	v_fma_f64 v[6:7], v[48:49], s[2:3], v[6:7]
	v_fma_f64 v[12:13], v[8:9], s[16:17], v[4:5]
	;; [unrolled: 1-line block ×3, first 2 shown]
	s_delay_alu instid0(VALU_DEP_3)
	v_fma_f64 v[178:179], v[2:3], s[14:15], v[6:7]
	v_add_f64_e32 v[6:7], v[146:147], v[18:19]
	v_fma_f64 v[174:175], v[2:3], s[14:15], v[50:51]
	v_add_f64_e32 v[2:3], v[18:19], v[30:31]
	v_fma_f64 v[12:13], v[10:11], s[2:3], v[12:13]
	v_fma_f64 v[4:5], v[10:11], s[12:13], v[4:5]
	v_add_f64_e32 v[6:7], v[6:7], v[22:23]
	s_delay_alu instid0(VALU_DEP_4) | instskip(NEXT) | instid1(VALU_DEP_4)
	v_fma_f64 v[2:3], v[2:3], -0.5, v[146:147]
	v_fma_f64 v[172:173], v[0:1], s[14:15], v[12:13]
	s_delay_alu instid0(VALU_DEP_4)
	v_fma_f64 v[176:177], v[0:1], s[14:15], v[4:5]
	v_add_f64_e32 v[4:5], v[144:145], v[16:17]
	v_add_f64_e32 v[0:1], v[16:17], v[28:29]
	v_add_f64_e32 v[6:7], v[6:7], v[26:27]
	v_add_f64_e64 v[12:13], v[20:21], -v[16:17]
	v_add_f64_e64 v[16:17], v[22:23], -v[18:19]
	;; [unrolled: 1-line block ×4, first 2 shown]
	v_add_f64_e32 v[4:5], v[4:5], v[20:21]
	v_fma_f64 v[0:1], v[0:1], -0.5, v[144:145]
	v_add_f64_e32 v[146:147], v[6:7], v[30:31]
	v_add_f64_e64 v[20:21], v[34:35], -v[38:39]
	v_add_f64_e32 v[12:13], v[12:13], v[18:19]
	v_add_f64_e32 v[4:5], v[4:5], v[24:25]
	v_fma_f64 v[6:7], v[10:11], s[18:19], v[0:1]
	v_fma_f64 v[0:1], v[10:11], s[16:17], v[0:1]
	;; [unrolled: 1-line block ×4, first 2 shown]
	v_add_f64_e64 v[24:25], v[32:33], -v[42:43]
	v_add_f64_e32 v[144:145], v[4:5], v[28:29]
	v_add_f64_e64 v[4:5], v[26:27], -v[30:31]
	v_fma_f64 v[0:1], v[8:9], s[12:13], v[0:1]
	v_fma_f64 v[6:7], v[8:9], s[2:3], v[6:7]
	;; [unrolled: 1-line block ×4, first 2 shown]
	v_add_f64_e64 v[14:15], v[38:39], -v[42:43]
	v_add_f64_e64 v[10:11], v[36:37], -v[46:47]
	v_add_f64_e32 v[4:5], v[16:17], v[4:5]
	v_fma_f64 v[242:243], v[12:13], s[14:15], v[0:1]
	v_add_f64_e64 v[0:1], v[38:39], -v[34:35]
	v_fma_f64 v[188:189], v[12:13], s[14:15], v[6:7]
	v_add_f64_e32 v[6:7], v[36:37], v[46:47]
	v_add_f64_e64 v[16:17], v[34:35], -v[32:33]
	v_fma_f64 v[244:245], v[4:5], s[14:15], v[2:3]
	v_add_f64_e64 v[2:3], v[42:43], -v[32:33]
	v_fma_f64 v[190:191], v[4:5], s[14:15], v[8:9]
	v_add_f64_e64 v[4:5], v[44:45], -v[46:47]
	v_fma_f64 v[6:7], v[6:7], -0.5, v[248:249]
	v_add_f64_e64 v[8:9], v[40:41], -v[44:45]
	ds_store_b128 v230, v[108:111]
	ds_store_b128 v230, v[144:147] offset:10000
	ds_store_b128 v230, v[116:119] offset:2000
	;; [unrolled: 1-line block ×9, first 2 shown]
	v_add_f64_e32 v[0:1], v[0:1], v[2:3]
	v_add_f64_e64 v[2:3], v[40:41], -v[36:37]
	v_fma_f64 v[18:19], v[14:15], s[16:17], v[6:7]
	v_fma_f64 v[6:7], v[14:15], s[18:19], v[6:7]
	s_delay_alu instid0(VALU_DEP_3) | instskip(SKIP_1) | instid1(VALU_DEP_4)
	v_add_f64_e32 v[2:3], v[2:3], v[4:5]
	v_add_f64_e32 v[4:5], v[34:35], v[32:33]
	v_fma_f64 v[18:19], v[16:17], s[12:13], v[18:19]
	s_delay_alu instid0(VALU_DEP_4) | instskip(NEXT) | instid1(VALU_DEP_3)
	v_fma_f64 v[6:7], v[16:17], s[2:3], v[6:7]
	v_fma_f64 v[4:5], v[4:5], -0.5, v[246:247]
	s_delay_alu instid0(VALU_DEP_3) | instskip(SKIP_1) | instid1(VALU_DEP_4)
	v_fma_f64 v[252:253], v[2:3], s[14:15], v[18:19]
	v_add_f64_e32 v[18:19], v[248:249], v[36:37]
	v_fma_f64 v[6:7], v[2:3], s[14:15], v[6:7]
	v_add_f64_e32 v[2:3], v[40:41], v[44:45]
	v_fma_f64 v[12:13], v[8:9], s[18:19], v[4:5]
	v_fma_f64 v[4:5], v[8:9], s[16:17], v[4:5]
	v_add_f64_e32 v[18:19], v[18:19], v[40:41]
	s_delay_alu instid0(VALU_DEP_4) | instskip(NEXT) | instid1(VALU_DEP_4)
	v_fma_f64 v[2:3], v[2:3], -0.5, v[248:249]
	v_fma_f64 v[12:13], v[10:11], s[2:3], v[12:13]
	s_delay_alu instid0(VALU_DEP_4) | instskip(NEXT) | instid1(VALU_DEP_4)
	v_fma_f64 v[4:5], v[10:11], s[12:13], v[4:5]
	v_add_f64_e32 v[18:19], v[18:19], v[44:45]
	s_delay_alu instid0(VALU_DEP_3) | instskip(SKIP_1) | instid1(VALU_DEP_4)
	v_fma_f64 v[250:251], v[0:1], s[14:15], v[12:13]
	v_add_f64_e32 v[12:13], v[246:247], v[34:35]
	v_fma_f64 v[4:5], v[0:1], s[14:15], v[4:5]
	v_add_f64_e32 v[0:1], v[38:39], v[42:43]
	v_add_f64_e32 v[248:249], v[18:19], v[46:47]
	s_delay_alu instid0(VALU_DEP_4) | instskip(NEXT) | instid1(VALU_DEP_3)
	v_add_f64_e32 v[12:13], v[12:13], v[38:39]
	v_fma_f64 v[0:1], v[0:1], -0.5, v[246:247]
	s_delay_alu instid0(VALU_DEP_2) | instskip(NEXT) | instid1(VALU_DEP_2)
	v_add_f64_e32 v[12:13], v[12:13], v[42:43]
	v_fma_f64 v[18:19], v[10:11], s[16:17], v[0:1]
	v_fma_f64 v[0:1], v[10:11], s[18:19], v[0:1]
	;; [unrolled: 1-line block ×4, first 2 shown]
	v_add_f64_e32 v[16:17], v[20:21], v[24:25]
	v_add_f64_e32 v[246:247], v[12:13], v[32:33]
	v_add_f64_e64 v[12:13], v[46:47], -v[44:45]
	v_fma_f64 v[18:19], v[8:9], s[2:3], v[18:19]
	v_fma_f64 v[0:1], v[8:9], s[12:13], v[0:1]
	;; [unrolled: 1-line block ×4, first 2 shown]
	v_lshlrev_b32_e32 v32, 5, v61
	v_add_f64_e32 v[12:13], v[22:23], v[12:13]
	v_fma_f64 v[232:233], v[16:17], s[14:15], v[18:19]
	v_fma_f64 v[0:1], v[16:17], s[14:15], v[0:1]
	v_lshlrev_b32_e32 v16, 5, v162
	s_delay_alu instid0(VALU_DEP_4) | instskip(SKIP_2) | instid1(VALU_DEP_1)
	v_fma_f64 v[234:235], v[12:13], s[14:15], v[8:9]
	v_fma_f64 v[2:3], v[12:13], s[14:15], v[2:3]
	v_and_b32_e32 v8, 0xffff, v60
	v_lshl_add_u32 v242, v8, 4, v160
	ds_store_b128 v242, v[246:249] offset:20000
	ds_store_b128 v242, v[232:235] offset:22000
	;; [unrolled: 1-line block ×5, first 2 shown]
	global_wb scope:SCOPE_SE
	s_wait_dscnt 0x0
	s_barrier_signal -1
	s_barrier_wait -1
	global_inv scope:SCOPE_SE
	s_clause 0x3
	global_load_b128 v[6:9], v32, s[10:11] offset:9920
	global_load_b128 v[116:119], v32, s[10:11] offset:9936
	;; [unrolled: 1-line block ×4, first 2 shown]
	ds_load_b128 v[0:3], v230 offset:10000
	v_mov_b32_e32 v253, v61
	ds_load_b128 v[243:246], v230 offset:2000
	s_wait_loadcnt_dscnt 0x301
	v_mul_f64_e32 v[4:5], v[2:3], v[8:9]
	scratch_store_b128 off, v[6:9], off offset:448 ; 16-byte Folded Spill
	v_fma_f64 v[4:5], v[0:1], v[6:7], -v[4:5]
	v_mul_f64_e32 v[0:1], v[0:1], v[8:9]
	s_delay_alu instid0(VALU_DEP_1) | instskip(SKIP_3) | instid1(VALU_DEP_1)
	v_fma_f64 v[6:7], v[2:3], v[6:7], v[0:1]
	ds_load_b128 v[0:3], v230 offset:20000
	s_wait_loadcnt_dscnt 0x200
	v_mul_f64_e32 v[8:9], v[2:3], v[118:119]
	v_fma_f64 v[8:9], v[0:1], v[116:117], -v[8:9]
	v_mul_f64_e32 v[0:1], v[0:1], v[118:119]
	s_delay_alu instid0(VALU_DEP_1) | instskip(SKIP_3) | instid1(VALU_DEP_1)
	v_fma_f64 v[10:11], v[2:3], v[116:117], v[0:1]
	ds_load_b128 v[0:3], v230 offset:12000
	s_wait_loadcnt_dscnt 0x100
	v_mul_f64_e32 v[12:13], v[2:3], v[126:127]
	v_fma_f64 v[30:31], v[0:1], v[124:125], -v[12:13]
	v_lshlrev_b32_e32 v12, 5, v161
	v_mul_f64_e32 v[0:1], v[0:1], v[126:127]
	s_clause 0x1
	global_load_b128 v[132:135], v12, s[10:11] offset:9920
	global_load_b128 v[144:147], v12, s[10:11] offset:9936
	v_add_nc_u32_e32 v12, 0x2ee0, v32
	s_clause 0x1
	global_load_b128 v[160:163], v12, s[10:11] offset:9920
	global_load_b128 v[172:175], v12, s[10:11] offset:9936
	v_add_nc_u32_e32 v12, 0x3e80, v32
	v_add_f64_e32 v[32:33], v[6:7], v[10:11]
	s_clause 0x1
	global_load_b128 v[176:179], v12, s[10:11] offset:9920
	global_load_b128 v[188:191], v12, s[10:11] offset:9936
	s_mov_b32 s10, 0xe8584caa
	s_mov_b32 s11, 0x3febb67a
	s_wait_alu 0xfffe
	s_mov_b32 s20, s10
	v_fma_f64 v[14:15], v[2:3], v[124:125], v[0:1]
	ds_load_b128 v[0:3], v230 offset:22000
	s_wait_loadcnt_dscnt 0x600
	v_mul_f64_e32 v[16:17], v[2:3], v[130:131]
	s_delay_alu instid0(VALU_DEP_1) | instskip(SKIP_1) | instid1(VALU_DEP_1)
	v_fma_f64 v[16:17], v[0:1], v[128:129], -v[16:17]
	v_mul_f64_e32 v[0:1], v[0:1], v[130:131]
	v_fma_f64 v[18:19], v[2:3], v[128:129], v[0:1]
	ds_load_b128 v[0:3], v230 offset:14000
	s_wait_loadcnt_dscnt 0x500
	v_mul_f64_e32 v[20:21], v[2:3], v[134:135]
	s_delay_alu instid0(VALU_DEP_1) | instskip(SKIP_1) | instid1(VALU_DEP_1)
	v_fma_f64 v[20:21], v[0:1], v[132:133], -v[20:21]
	v_mul_f64_e32 v[0:1], v[0:1], v[134:135]
	;; [unrolled: 7-line block ×6, first 2 shown]
	v_fma_f64 v[58:59], v[2:3], v[176:177], v[0:1]
	ds_load_b128 v[0:3], v230 offset:28000
	s_wait_loadcnt_dscnt 0x0
	v_mul_f64_e32 v[28:29], v[2:3], v[190:191]
	s_delay_alu instid0(VALU_DEP_1) | instskip(SKIP_2) | instid1(VALU_DEP_2)
	v_fma_f64 v[251:252], v[0:1], v[188:189], -v[28:29]
	v_mul_f64_e32 v[0:1], v[0:1], v[190:191]
	v_add_f64_e32 v[28:29], v[4:5], v[8:9]
	v_fma_f64 v[12:13], v[2:3], v[188:189], v[0:1]
	ds_load_b128 v[0:3], v230
	s_wait_dscnt 0x0
	v_fma_f64 v[28:29], v[28:29], -0.5, v[0:1]
	v_add_f64_e32 v[0:1], v[0:1], v[4:5]
	v_fma_f64 v[32:33], v[32:33], -0.5, v[2:3]
	v_add_f64_e32 v[2:3], v[2:3], v[6:7]
	v_add_f64_e64 v[6:7], v[6:7], -v[10:11]
	s_delay_alu instid0(VALU_DEP_4) | instskip(SKIP_1) | instid1(VALU_DEP_4)
	v_add_f64_e32 v[36:37], v[0:1], v[8:9]
	v_add_f64_e64 v[0:1], v[4:5], -v[8:9]
	v_add_f64_e32 v[38:39], v[2:3], v[10:11]
	v_add_f64_e32 v[2:3], v[14:15], v[18:19]
	;; [unrolled: 1-line block ×3, first 2 shown]
	v_add_f64_e64 v[8:9], v[14:15], -v[18:19]
	v_fma_f64 v[44:45], v[6:7], s[10:11], v[28:29]
	s_wait_alu 0xfffe
	v_fma_f64 v[232:233], v[6:7], s[20:21], v[28:29]
	v_add_f64_e32 v[6:7], v[243:244], v[30:31]
	v_add_f64_e64 v[14:15], v[50:51], -v[54:55]
	v_fma_f64 v[46:47], v[0:1], s[20:21], v[32:33]
	v_fma_f64 v[234:235], v[0:1], s[10:11], v[32:33]
	v_add_f64_e32 v[0:1], v[30:31], v[16:17]
	v_fma_f64 v[2:3], v[2:3], -0.5, v[245:246]
	v_add_f64_e32 v[245:246], v[4:5], v[18:19]
	v_add_f64_e64 v[4:5], v[30:31], -v[16:17]
	s_delay_alu instid0(VALU_DEP_4) | instskip(SKIP_2) | instid1(VALU_DEP_4)
	v_fma_f64 v[0:1], v[0:1], -0.5, v[243:244]
	v_add_f64_e32 v[243:244], v[6:7], v[16:17]
	v_add_f64_e32 v[6:7], v[22:23], v[26:27]
	v_fma_f64 v[249:250], v[4:5], s[20:21], v[2:3]
	v_fma_f64 v[42:43], v[4:5], s[10:11], v[2:3]
	v_add_f64_e32 v[4:5], v[20:21], v[24:25]
	v_fma_f64 v[247:248], v[8:9], s[10:11], v[0:1]
	v_fma_f64 v[40:41], v[8:9], s[20:21], v[0:1]
	ds_load_b128 v[0:3], v230 offset:4000
	v_add_f64_e64 v[8:9], v[22:23], -v[26:27]
	s_wait_dscnt 0x0
	v_fma_f64 v[4:5], v[4:5], -0.5, v[0:1]
	v_add_f64_e32 v[0:1], v[0:1], v[20:21]
	v_fma_f64 v[6:7], v[6:7], -0.5, v[2:3]
	v_add_f64_e32 v[2:3], v[2:3], v[22:23]
	s_delay_alu instid0(VALU_DEP_4) | instskip(NEXT) | instid1(VALU_DEP_4)
	v_fma_f64 v[28:29], v[8:9], s[10:11], v[4:5]
	v_add_f64_e32 v[16:17], v[0:1], v[24:25]
	v_add_f64_e64 v[0:1], v[20:21], -v[24:25]
	v_fma_f64 v[32:33], v[8:9], s[20:21], v[4:5]
	v_add_f64_e32 v[4:5], v[48:49], v[52:53]
	v_add_f64_e32 v[18:19], v[2:3], v[26:27]
	s_delay_alu instid0(VALU_DEP_4)
	v_fma_f64 v[30:31], v[0:1], s[20:21], v[6:7]
	v_fma_f64 v[34:35], v[0:1], s[10:11], v[6:7]
	ds_load_b128 v[0:3], v230 offset:6000
	v_add_f64_e32 v[6:7], v[50:51], v[54:55]
	s_wait_dscnt 0x0
	v_fma_f64 v[4:5], v[4:5], -0.5, v[0:1]
	v_add_f64_e32 v[0:1], v[0:1], v[48:49]
	s_delay_alu instid0(VALU_DEP_3)
	v_fma_f64 v[6:7], v[6:7], -0.5, v[2:3]
	v_add_f64_e32 v[2:3], v[2:3], v[50:51]
	v_add_f64_e64 v[50:51], v[56:57], -v[251:252]
	v_fma_f64 v[24:25], v[14:15], s[10:11], v[4:5]
	v_add_f64_e32 v[8:9], v[0:1], v[52:53]
	v_add_f64_e64 v[0:1], v[48:49], -v[52:53]
	v_fma_f64 v[20:21], v[14:15], s[20:21], v[4:5]
	v_add_f64_e32 v[4:5], v[56:57], v[251:252]
	v_add_f64_e64 v[48:49], v[58:59], -v[12:13]
	v_add_f64_e32 v[10:11], v[2:3], v[54:55]
	v_fma_f64 v[26:27], v[0:1], s[20:21], v[6:7]
	v_fma_f64 v[22:23], v[0:1], s[10:11], v[6:7]
	ds_load_b128 v[0:3], v230 offset:8000
	s_wait_dscnt 0x0
	v_fma_f64 v[6:7], v[4:5], -0.5, v[0:1]
	v_add_f64_e32 v[4:5], v[58:59], v[12:13]
	v_add_f64_e32 v[0:1], v[0:1], v[56:57]
	s_delay_alu instid0(VALU_DEP_2) | instskip(SKIP_1) | instid1(VALU_DEP_3)
	v_fma_f64 v[14:15], v[4:5], -0.5, v[2:3]
	v_add_f64_e32 v[2:3], v[2:3], v[58:59]
	v_add_f64_e32 v[0:1], v[0:1], v[251:252]
	v_fma_f64 v[4:5], v[48:49], s[10:11], v[6:7]
	s_delay_alu instid0(VALU_DEP_3)
	v_add_f64_e32 v[2:3], v[2:3], v[12:13]
	v_fma_f64 v[12:13], v[48:49], s[20:21], v[6:7]
	v_fma_f64 v[6:7], v[50:51], s[20:21], v[14:15]
	;; [unrolled: 1-line block ×3, first 2 shown]
	ds_store_b128 v230, v[36:39]
	ds_store_b128 v230, v[243:246] offset:2000
	ds_store_b128 v230, v[16:19] offset:4000
	;; [unrolled: 1-line block ×14, first 2 shown]
	global_wb scope:SCOPE_SE
	s_wait_storecnt_dscnt 0x0
	s_barrier_signal -1
	s_barrier_wait -1
	global_inv scope:SCOPE_SE
	global_load_b128 v[0:3], v231, s[8:9] offset:30000
	ds_load_b128 v[4:7], v230
	ds_load_b128 v[34:37], v230 offset:2000
	s_add_nc_u64 s[8:9], s[8:9], 0x7530
	ds_load_b128 v[10:13], v230 offset:6000
	ds_load_b128 v[40:43], v230 offset:8000
	;; [unrolled: 1-line block ×8, first 2 shown]
	s_wait_loadcnt_dscnt 0x9
	v_mul_f64_e32 v[8:9], v[6:7], v[2:3]
	v_mul_f64_e32 v[2:3], v[4:5], v[2:3]
	s_delay_alu instid0(VALU_DEP_2) | instskip(NEXT) | instid1(VALU_DEP_2)
	v_fma_f64 v[56:57], v[4:5], v[0:1], -v[8:9]
	v_fma_f64 v[58:59], v[6:7], v[0:1], v[2:3]
	global_load_b128 v[6:9], v231, s[8:9] offset:6000
	s_wait_loadcnt_dscnt 0x7
	v_mul_f64_e32 v[2:3], v[10:11], v[8:9]
	v_mul_f64_e32 v[0:1], v[12:13], v[8:9]
	s_delay_alu instid0(VALU_DEP_2)
	v_fma_f64 v[54:55], v[12:13], v[6:7], v[2:3]
	global_load_b128 v[12:15], v231, s[8:9] offset:12000
	v_fma_f64 v[52:53], v[10:11], v[6:7], -v[0:1]
	s_wait_loadcnt_dscnt 0x5
	v_mul_f64_e32 v[2:3], v[16:17], v[14:15]
	v_mul_f64_e32 v[0:1], v[18:19], v[14:15]
	s_delay_alu instid0(VALU_DEP_2)
	v_fma_f64 v[50:51], v[18:19], v[12:13], v[2:3]
	global_load_b128 v[18:21], v231, s[8:9] offset:18000
	v_fma_f64 v[48:49], v[16:17], v[12:13], -v[0:1]
	s_wait_loadcnt_dscnt 0x3
	v_mul_f64_e32 v[0:1], v[24:25], v[20:21]
	v_mul_f64_e32 v[2:3], v[22:23], v[20:21]
	s_delay_alu instid0(VALU_DEP_2) | instskip(NEXT) | instid1(VALU_DEP_2)
	v_fma_f64 v[20:21], v[22:23], v[18:19], -v[0:1]
	v_fma_f64 v[22:23], v[24:25], v[18:19], v[2:3]
	global_load_b128 v[24:27], v231, s[8:9] offset:24000
	s_wait_loadcnt_dscnt 0x1
	v_mul_f64_e32 v[0:1], v[30:31], v[26:27]
	v_mul_f64_e32 v[2:3], v[28:29], v[26:27]
	s_delay_alu instid0(VALU_DEP_2) | instskip(NEXT) | instid1(VALU_DEP_2)
	v_fma_f64 v[26:27], v[28:29], v[24:25], -v[0:1]
	v_fma_f64 v[28:29], v[30:31], v[24:25], v[2:3]
	global_load_b128 v[30:33], v231, s[8:9] offset:2000
	s_wait_loadcnt 0x0
	v_mul_f64_e32 v[0:1], v[36:37], v[32:33]
	v_mul_f64_e32 v[2:3], v[34:35], v[32:33]
	s_delay_alu instid0(VALU_DEP_2) | instskip(NEXT) | instid1(VALU_DEP_2)
	v_fma_f64 v[32:33], v[34:35], v[30:31], -v[0:1]
	v_fma_f64 v[34:35], v[36:37], v[30:31], v[2:3]
	global_load_b128 v[36:39], v231, s[8:9] offset:8000
	s_wait_loadcnt 0x0
	;; [unrolled: 7-line block ×4, first 2 shown]
	v_mul_f64_e32 v[0:1], v[245:246], v[234:235]
	v_mul_f64_e32 v[2:3], v[243:244], v[234:235]
	s_delay_alu instid0(VALU_DEP_2) | instskip(NEXT) | instid1(VALU_DEP_2)
	v_fma_f64 v[243:244], v[243:244], v[232:233], -v[0:1]
	v_fma_f64 v[245:246], v[245:246], v[232:233], v[2:3]
	global_load_b128 v[232:235], v231, s[8:9] offset:26000
	s_wait_loadcnt_dscnt 0x0
	v_mul_f64_e32 v[0:1], v[249:250], v[234:235]
	v_mul_f64_e32 v[2:3], v[247:248], v[234:235]
	s_delay_alu instid0(VALU_DEP_2) | instskip(NEXT) | instid1(VALU_DEP_2)
	v_fma_f64 v[247:248], v[247:248], v[232:233], -v[0:1]
	v_fma_f64 v[249:250], v[249:250], v[232:233], v[2:3]
	global_load_b128 v[232:235], v231, s[8:9] offset:4000
	ds_load_b128 v[0:3], v230 offset:4000
	s_wait_loadcnt_dscnt 0x0
	v_mul_f64_e32 v[4:5], v[2:3], v[234:235]
	v_mul_f64_e32 v[6:7], v[0:1], v[234:235]
	s_delay_alu instid0(VALU_DEP_2) | instskip(NEXT) | instid1(VALU_DEP_2)
	v_fma_f64 v[12:13], v[0:1], v[232:233], -v[4:5]
	v_fma_f64 v[14:15], v[2:3], v[232:233], v[6:7]
	global_load_b128 v[4:7], v231, s[8:9] offset:10000
	ds_load_b128 v[232:235], v230 offset:10000
	;; [unrolled: 8-line block ×5, first 2 shown]
	s_wait_loadcnt_dscnt 0x0
	v_mul_f64_e32 v[24:25], v[18:19], v[6:7]
	v_mul_f64_e32 v[6:7], v[16:17], v[6:7]
	s_delay_alu instid0(VALU_DEP_2) | instskip(NEXT) | instid1(VALU_DEP_2)
	v_fma_f64 v[16:17], v[16:17], v[4:5], -v[24:25]
	v_fma_f64 v[18:19], v[18:19], v[4:5], v[6:7]
	ds_store_b128 v230, v[56:59]
	ds_store_b128 v230, v[32:35] offset:2000
	ds_store_b128 v230, v[48:51] offset:12000
	;; [unrolled: 1-line block ×14, first 2 shown]
	global_wb scope:SCOPE_SE
	s_wait_dscnt 0x0
	s_barrier_signal -1
	s_barrier_wait -1
	global_inv scope:SCOPE_SE
	ds_load_b128 v[0:3], v230 offset:6000
	ds_load_b128 v[4:7], v230
	ds_load_b128 v[8:11], v230 offset:12000
	s_wait_dscnt 0x1
	v_add_f64_e32 v[12:13], v[4:5], v[0:1]
	s_wait_dscnt 0x0
	v_add_f64_e64 v[112:113], v[0:1], -v[8:9]
	v_add_f64_e64 v[100:101], v[8:9], -v[0:1]
	;; [unrolled: 1-line block ×4, first 2 shown]
	v_add_f64_e32 v[16:17], v[12:13], v[8:9]
	v_add_f64_e32 v[12:13], v[6:7], v[2:3]
	s_delay_alu instid0(VALU_DEP_1)
	v_add_f64_e32 v[18:19], v[12:13], v[10:11]
	ds_load_b128 v[12:15], v230 offset:18000
	s_wait_dscnt 0x0
	v_add_f64_e32 v[104:105], v[8:9], v[12:13]
	v_add_f64_e64 v[34:35], v[10:11], -v[14:15]
	v_add_f64_e32 v[96:97], v[10:11], v[14:15]
	v_add_f64_e64 v[42:43], v[8:9], -v[12:13]
	ds_load_b128 v[8:11], v230 offset:24000
	s_wait_dscnt 0x0
	v_add_f64_e64 v[48:49], v[2:3], -v[10:11]
	v_add_f64_e32 v[72:73], v[0:1], v[8:9]
	v_add_f64_e64 v[52:53], v[0:1], -v[8:9]
	v_add_f64_e32 v[76:77], v[2:3], v[10:11]
	v_add_f64_e32 v[0:1], v[16:17], v[12:13]
	;; [unrolled: 1-line block ×3, first 2 shown]
	v_add_f64_e64 v[92:93], v[8:9], -v[12:13]
	v_add_f64_e64 v[32:33], v[12:13], -v[8:9]
	;; [unrolled: 1-line block ×4, first 2 shown]
	v_add_f64_e32 v[249:250], v[0:1], v[8:9]
	v_add_f64_e32 v[251:252], v[2:3], v[10:11]
	ds_load_b128 v[8:11], v230 offset:2000
	ds_load_b128 v[12:15], v230 offset:8000
	;; [unrolled: 1-line block ×3, first 2 shown]
	s_wait_dscnt 0x1
	v_add_f64_e32 v[20:21], v[8:9], v[12:13]
	s_wait_dscnt 0x0
	v_add_f64_e64 v[247:248], v[12:13], -v[16:17]
	v_add_f64_e64 v[80:81], v[16:17], -v[12:13]
	;; [unrolled: 1-line block ×4, first 2 shown]
	v_add_f64_e32 v[24:25], v[20:21], v[16:17]
	v_add_f64_e32 v[20:21], v[10:11], v[14:15]
	s_delay_alu instid0(VALU_DEP_1)
	v_add_f64_e32 v[26:27], v[20:21], v[18:19]
	ds_load_b128 v[20:23], v230 offset:20000
	s_wait_dscnt 0x0
	v_add_f64_e32 v[243:244], v[16:17], v[20:21]
	v_add_f64_e64 v[245:246], v[18:19], -v[22:23]
	v_add_f64_e32 v[68:69], v[18:19], v[22:23]
	v_add_f64_e64 v[36:37], v[16:17], -v[20:21]
	ds_load_b128 v[16:19], v230 offset:26000
	s_wait_dscnt 0x0
	v_add_f64_e64 v[66:67], v[14:15], -v[18:19]
	v_add_f64_e32 v[58:59], v[12:13], v[16:17]
	v_add_f64_e64 v[70:71], v[12:13], -v[16:17]
	v_add_f64_e32 v[60:61], v[14:15], v[18:19]
	v_add_f64_e32 v[12:13], v[24:25], v[20:21]
	;; [unrolled: 1-line block ×3, first 2 shown]
	v_add_f64_e64 v[74:75], v[16:17], -v[20:21]
	v_add_f64_e64 v[2:3], v[20:21], -v[16:17]
	;; [unrolled: 1-line block ×4, first 2 shown]
	v_add_f64_e32 v[38:39], v[12:13], v[16:17]
	v_add_f64_e32 v[40:41], v[14:15], v[18:19]
	ds_load_b128 v[16:19], v230 offset:4000
	ds_load_b128 v[20:23], v230 offset:10000
	;; [unrolled: 1-line block ×3, first 2 shown]
	s_wait_dscnt 0x1
	v_add_f64_e32 v[28:29], v[16:17], v[20:21]
	s_wait_dscnt 0x0
	v_add_f64_e64 v[64:65], v[20:21], -v[24:25]
	v_add_f64_e64 v[56:57], v[24:25], -v[20:21]
	;; [unrolled: 1-line block ×4, first 2 shown]
	v_add_f64_e32 v[82:83], v[28:29], v[24:25]
	v_add_f64_e32 v[28:29], v[18:19], v[22:23]
	s_delay_alu instid0(VALU_DEP_1)
	v_add_f64_e32 v[0:1], v[28:29], v[26:27]
	ds_load_b128 v[28:31], v230 offset:22000
	s_wait_dscnt 0x0
	v_add_f64_e32 v[86:87], v[24:25], v[28:29]
	v_add_f64_e64 v[14:15], v[26:27], -v[30:31]
	v_add_f64_e32 v[94:95], v[26:27], v[30:31]
	v_add_f64_e64 v[12:13], v[24:25], -v[28:29]
	ds_load_b128 v[24:27], v230 offset:28000
	global_wb scope:SCOPE_SE
	s_wait_dscnt 0x0
	s_barrier_signal -1
	s_barrier_wait -1
	global_inv scope:SCOPE_SE
	v_add_f64_e32 v[0:1], v[0:1], v[30:31]
	v_add_f64_e32 v[44:45], v[20:21], v[24:25]
	v_add_f64_e64 v[106:107], v[20:21], -v[24:25]
	v_add_f64_e32 v[20:21], v[82:83], v[28:29]
	v_add_f64_e64 v[102:103], v[22:23], -v[26:27]
	;; [unrolled: 2-line block ×3, first 2 shown]
	v_add_f64_e64 v[110:111], v[28:29], -v[24:25]
	v_add_f64_e64 v[54:55], v[26:27], -v[30:31]
	v_add_f64_e64 v[114:115], v[30:31], -v[26:27]
	v_fma_f64 v[28:29], v[104:105], -0.5, v[4:5]
	v_fma_f64 v[30:31], v[96:97], -0.5, v[6:7]
	v_add_f64_e32 v[22:23], v[0:1], v[26:27]
	v_fma_f64 v[0:1], v[72:73], -0.5, v[4:5]
	v_add_f64_e32 v[26:27], v[100:101], v[32:33]
	v_add_f64_e32 v[32:33], v[84:85], v[233:234]
	;; [unrolled: 1-line block ×3, first 2 shown]
	v_fma_f64 v[24:25], v[76:77], -0.5, v[6:7]
	v_fma_f64 v[4:5], v[34:35], s[16:17], v[0:1]
	v_fma_f64 v[0:1], v[34:35], s[18:19], v[0:1]
	s_delay_alu instid0(VALU_DEP_3) | instskip(SKIP_1) | instid1(VALU_DEP_4)
	v_fma_f64 v[6:7], v[42:43], s[18:19], v[24:25]
	v_fma_f64 v[24:25], v[42:43], s[16:17], v[24:25]
	;; [unrolled: 1-line block ×3, first 2 shown]
	s_delay_alu instid0(VALU_DEP_4) | instskip(NEXT) | instid1(VALU_DEP_4)
	v_fma_f64 v[0:1], v[48:49], s[2:3], v[0:1]
	v_fma_f64 v[6:7], v[52:53], s[2:3], v[6:7]
	s_delay_alu instid0(VALU_DEP_4) | instskip(NEXT) | instid1(VALU_DEP_4)
	v_fma_f64 v[72:73], v[52:53], s[12:13], v[24:25]
	v_fma_f64 v[4:5], v[26:27], s[14:15], v[4:5]
	s_delay_alu instid0(VALU_DEP_4)
	v_fma_f64 v[24:25], v[26:27], s[14:15], v[0:1]
	v_fma_f64 v[0:1], v[48:49], s[18:19], v[28:29]
	;; [unrolled: 1-line block ×3, first 2 shown]
	v_add_f64_e32 v[48:49], v[112:113], v[92:93]
	v_fma_f64 v[6:7], v[32:33], s[14:15], v[6:7]
	v_fma_f64 v[26:27], v[32:33], s[14:15], v[72:73]
	;; [unrolled: 1-line block ×4, first 2 shown]
	v_add_f64_e32 v[52:53], v[108:109], v[231:232]
	v_fma_f64 v[0:1], v[34:35], s[12:13], v[0:1]
	v_fma_f64 v[34:35], v[34:35], s[2:3], v[28:29]
	;; [unrolled: 1-line block ×4, first 2 shown]
	s_delay_alu instid0(VALU_DEP_4) | instskip(NEXT) | instid1(VALU_DEP_3)
	v_fma_f64 v[28:29], v[48:49], s[14:15], v[0:1]
	v_fma_f64 v[30:31], v[52:53], s[14:15], v[32:33]
	;; [unrolled: 1-line block ×3, first 2 shown]
	s_delay_alu instid0(VALU_DEP_4)
	v_fma_f64 v[34:35], v[52:53], s[14:15], v[42:43]
	ds_store_b128 v229, v[249:252]
	ds_store_b128 v229, v[28:31] offset:16
	ds_store_b128 v229, v[4:7] offset:32
	;; [unrolled: 1-line block ×4, first 2 shown]
	v_fma_f64 v[4:5], v[58:59], -0.5, v[8:9]
	v_fma_f64 v[6:7], v[60:61], -0.5, v[10:11]
	;; [unrolled: 1-line block ×4, first 2 shown]
	v_add_f64_e32 v[10:11], v[80:81], v[2:3]
	v_add_f64_e32 v[26:27], v[62:63], v[90:91]
	;; [unrolled: 1-line block ×4, first 2 shown]
	v_fma_f64 v[0:1], v[245:246], s[16:17], v[4:5]
	v_fma_f64 v[4:5], v[245:246], s[18:19], v[4:5]
	;; [unrolled: 1-line block ×4, first 2 shown]
	s_delay_alu instid0(VALU_DEP_4) | instskip(NEXT) | instid1(VALU_DEP_4)
	v_fma_f64 v[0:1], v[66:67], s[12:13], v[0:1]
	v_fma_f64 v[4:5], v[66:67], s[2:3], v[4:5]
	s_delay_alu instid0(VALU_DEP_4) | instskip(NEXT) | instid1(VALU_DEP_4)
	v_fma_f64 v[2:3], v[70:71], s[2:3], v[2:3]
	v_fma_f64 v[6:7], v[70:71], s[12:13], v[6:7]
	;; [unrolled: 3-line block ×3, first 2 shown]
	v_fma_f64 v[10:11], v[66:67], s[18:19], v[8:9]
	v_fma_f64 v[8:9], v[66:67], s[16:17], v[8:9]
	;; [unrolled: 1-line block ×8, first 2 shown]
	s_delay_alu instid0(VALU_DEP_4) | instskip(NEXT) | instid1(VALU_DEP_4)
	v_fma_f64 v[26:27], v[36:37], s[2:3], v[26:27]
	v_fma_f64 v[34:35], v[36:37], s[12:13], v[24:25]
	s_delay_alu instid0(VALU_DEP_4) | instskip(NEXT) | instid1(VALU_DEP_4)
	v_fma_f64 v[8:9], v[28:29], s[14:15], v[10:11]
	v_fma_f64 v[24:25], v[28:29], s[14:15], v[32:33]
	scratch_load_b32 v28, off, off offset:444 th:TH_LOAD_LU ; 4-byte Folded Reload
	v_fma_f64 v[10:11], v[30:31], s[14:15], v[26:27]
	v_fma_f64 v[26:27], v[30:31], s[14:15], v[34:35]
	s_wait_loadcnt 0x0
	ds_store_b128 v28, v[38:41]
	ds_store_b128 v28, v[8:11] offset:16
	ds_store_b128 v28, v[0:3] offset:32
	;; [unrolled: 1-line block ×4, first 2 shown]
	v_fma_f64 v[4:5], v[44:45], -0.5, v[16:17]
	v_fma_f64 v[8:9], v[86:87], -0.5, v[16:17]
	v_add_f64_e32 v[16:17], v[56:57], v[110:111]
	v_add_f64_e32 v[24:25], v[64:65], v[82:83]
	v_fma_f64 v[6:7], v[46:47], -0.5, v[18:19]
	v_fma_f64 v[10:11], v[94:95], -0.5, v[18:19]
	v_add_f64_e32 v[18:19], v[50:51], v[114:115]
	v_add_f64_e32 v[26:27], v[98:99], v[54:55]
	v_fma_f64 v[0:1], v[14:15], s[16:17], v[4:5]
	v_fma_f64 v[4:5], v[14:15], s[18:19], v[4:5]
	;; [unrolled: 1-line block ×4, first 2 shown]
	s_delay_alu instid0(VALU_DEP_4) | instskip(NEXT) | instid1(VALU_DEP_4)
	v_fma_f64 v[0:1], v[102:103], s[12:13], v[0:1]
	v_fma_f64 v[4:5], v[102:103], s[2:3], v[4:5]
	s_delay_alu instid0(VALU_DEP_4) | instskip(NEXT) | instid1(VALU_DEP_4)
	v_fma_f64 v[2:3], v[106:107], s[2:3], v[2:3]
	v_fma_f64 v[6:7], v[106:107], s[12:13], v[6:7]
	;; [unrolled: 3-line block ×3, first 2 shown]
	v_fma_f64 v[16:17], v[102:103], s[18:19], v[8:9]
	v_fma_f64 v[8:9], v[102:103], s[16:17], v[8:9]
	v_fma_f64 v[2:3], v[18:19], s[14:15], v[2:3]
	v_fma_f64 v[6:7], v[18:19], s[14:15], v[6:7]
	v_fma_f64 v[18:19], v[106:107], s[16:17], v[10:11]
	v_fma_f64 v[10:11], v[106:107], s[18:19], v[10:11]
	v_fma_f64 v[16:17], v[14:15], s[12:13], v[16:17]
	v_fma_f64 v[14:15], v[14:15], s[2:3], v[8:9]
	s_delay_alu instid0(VALU_DEP_4) | instskip(NEXT) | instid1(VALU_DEP_4)
	v_fma_f64 v[18:19], v[12:13], s[2:3], v[18:19]
	v_fma_f64 v[28:29], v[12:13], s[12:13], v[10:11]
	s_delay_alu instid0(VALU_DEP_4)
	v_fma_f64 v[8:9], v[24:25], s[14:15], v[16:17]
	scratch_load_b32 v16, off, off offset:440 th:TH_LOAD_LU ; 4-byte Folded Reload
	v_fma_f64 v[12:13], v[24:25], s[14:15], v[14:15]
	v_fma_f64 v[10:11], v[26:27], s[14:15], v[18:19]
	;; [unrolled: 1-line block ×3, first 2 shown]
	s_wait_loadcnt 0x0
	ds_store_b128 v16, v[20:23]
	ds_store_b128 v16, v[8:11] offset:16
	ds_store_b128 v16, v[0:3] offset:32
	;; [unrolled: 1-line block ×4, first 2 shown]
	global_wb scope:SCOPE_SE
	s_wait_dscnt 0x0
	s_barrier_signal -1
	s_barrier_wait -1
	global_inv scope:SCOPE_SE
	scratch_load_b128 v[6:9], off, off offset:296 th:TH_LOAD_LU ; 16-byte Folded Reload
	ds_load_b128 v[0:3], v230 offset:6000
	s_wait_loadcnt_dscnt 0x0
	v_mul_f64_e32 v[4:5], v[8:9], v[2:3]
	s_delay_alu instid0(VALU_DEP_1) | instskip(SKIP_1) | instid1(VALU_DEP_1)
	v_fma_f64 v[12:13], v[6:7], v[0:1], v[4:5]
	v_mul_f64_e32 v[0:1], v[8:9], v[0:1]
	v_fma_f64 v[14:15], v[6:7], v[2:3], -v[0:1]
	scratch_load_b128 v[6:9], off, off offset:280 th:TH_LOAD_LU ; 16-byte Folded Reload
	ds_load_b128 v[0:3], v230 offset:12000
	s_wait_loadcnt_dscnt 0x0
	v_mul_f64_e32 v[4:5], v[8:9], v[2:3]
	s_delay_alu instid0(VALU_DEP_1) | instskip(SKIP_1) | instid1(VALU_DEP_1)
	v_fma_f64 v[16:17], v[6:7], v[0:1], v[4:5]
	v_mul_f64_e32 v[0:1], v[8:9], v[0:1]
	v_fma_f64 v[18:19], v[6:7], v[2:3], -v[0:1]
	scratch_load_b128 v[6:9], off, off offset:264 th:TH_LOAD_LU ; 16-byte Folded Reload
	ds_load_b128 v[0:3], v230 offset:18000
	s_wait_loadcnt_dscnt 0x0
	v_mul_f64_e32 v[4:5], v[8:9], v[2:3]
	s_delay_alu instid0(VALU_DEP_1) | instskip(SKIP_1) | instid1(VALU_DEP_2)
	v_fma_f64 v[20:21], v[6:7], v[0:1], v[4:5]
	v_mul_f64_e32 v[0:1], v[8:9], v[0:1]
	v_add_f64_e64 v[52:53], v[16:17], -v[20:21]
	s_delay_alu instid0(VALU_DEP_2)
	v_fma_f64 v[22:23], v[6:7], v[2:3], -v[0:1]
	scratch_load_b128 v[6:9], off, off offset:248 th:TH_LOAD_LU ; 16-byte Folded Reload
	ds_load_b128 v[0:3], v230 offset:24000
	v_add_f64_e64 v[48:49], v[18:19], -v[22:23]
	s_wait_loadcnt_dscnt 0x0
	v_mul_f64_e32 v[4:5], v[8:9], v[2:3]
	s_delay_alu instid0(VALU_DEP_1) | instskip(SKIP_1) | instid1(VALU_DEP_2)
	v_fma_f64 v[24:25], v[6:7], v[0:1], v[4:5]
	v_mul_f64_e32 v[0:1], v[8:9], v[0:1]
	v_add_f64_e64 v[54:55], v[12:13], -v[24:25]
	s_delay_alu instid0(VALU_DEP_2)
	v_fma_f64 v[26:27], v[6:7], v[2:3], -v[0:1]
	scratch_load_b128 v[6:9], off, off offset:312 th:TH_LOAD_LU ; 16-byte Folded Reload
	ds_load_b128 v[0:3], v230 offset:8000
	v_add_f64_e64 v[50:51], v[14:15], -v[26:27]
	s_wait_loadcnt_dscnt 0x0
	v_mul_f64_e32 v[4:5], v[8:9], v[2:3]
	s_delay_alu instid0(VALU_DEP_1) | instskip(SKIP_1) | instid1(VALU_DEP_1)
	v_fma_f64 v[28:29], v[6:7], v[0:1], v[4:5]
	v_mul_f64_e32 v[0:1], v[8:9], v[0:1]
	v_fma_f64 v[30:31], v[6:7], v[2:3], -v[0:1]
	scratch_load_b128 v[6:9], off, off offset:344 th:TH_LOAD_LU ; 16-byte Folded Reload
	ds_load_b128 v[0:3], v230 offset:14000
	s_wait_loadcnt_dscnt 0x0
	v_mul_f64_e32 v[4:5], v[8:9], v[2:3]
	s_delay_alu instid0(VALU_DEP_1) | instskip(SKIP_1) | instid1(VALU_DEP_1)
	v_fma_f64 v[32:33], v[6:7], v[0:1], v[4:5]
	v_mul_f64_e32 v[0:1], v[8:9], v[0:1]
	v_fma_f64 v[34:35], v[6:7], v[2:3], -v[0:1]
	scratch_load_b128 v[6:9], off, off offset:328 th:TH_LOAD_LU ; 16-byte Folded Reload
	ds_load_b128 v[0:3], v230 offset:20000
	;; [unrolled: 8-line block ×7, first 2 shown]
	s_wait_loadcnt_dscnt 0x0
	v_mul_f64_e32 v[4:5], v[8:9], v[2:3]
	s_delay_alu instid0(VALU_DEP_1) | instskip(SKIP_2) | instid1(VALU_DEP_2)
	v_fma_f64 v[72:73], v[6:7], v[0:1], v[4:5]
	v_mul_f64_e32 v[0:1], v[8:9], v[0:1]
	v_add_f64_e32 v[4:5], v[12:13], v[24:25]
	v_fma_f64 v[74:75], v[6:7], v[2:3], -v[0:1]
	v_add_f64_e64 v[0:1], v[16:17], -v[12:13]
	v_add_f64_e64 v[2:3], v[20:21], -v[24:25]
	s_delay_alu instid0(VALU_DEP_1) | instskip(SKIP_2) | instid1(VALU_DEP_1)
	v_add_f64_e32 v[8:9], v[0:1], v[2:3]
	v_add_f64_e64 v[0:1], v[18:19], -v[14:15]
	v_add_f64_e64 v[2:3], v[22:23], -v[26:27]
	v_add_f64_e32 v[10:11], v[0:1], v[2:3]
	ds_load_b128 v[0:3], v230
	s_wait_dscnt 0x0
	v_fma_f64 v[44:45], v[4:5], -0.5, v[0:1]
	v_add_f64_e32 v[4:5], v[14:15], v[26:27]
	s_delay_alu instid0(VALU_DEP_1) | instskip(NEXT) | instid1(VALU_DEP_3)
	v_fma_f64 v[46:47], v[4:5], -0.5, v[2:3]
	v_fma_f64 v[4:5], v[48:49], s[16:17], v[44:45]
	v_fma_f64 v[44:45], v[48:49], s[18:19], v[44:45]
	s_delay_alu instid0(VALU_DEP_3) | instskip(SKIP_1) | instid1(VALU_DEP_4)
	v_fma_f64 v[6:7], v[52:53], s[18:19], v[46:47]
	v_fma_f64 v[46:47], v[52:53], s[16:17], v[46:47]
	;; [unrolled: 1-line block ×3, first 2 shown]
	s_delay_alu instid0(VALU_DEP_4) | instskip(NEXT) | instid1(VALU_DEP_4)
	v_fma_f64 v[44:45], v[50:51], s[2:3], v[44:45]
	v_fma_f64 v[6:7], v[54:55], s[2:3], v[6:7]
	s_delay_alu instid0(VALU_DEP_4) | instskip(NEXT) | instid1(VALU_DEP_4)
	v_fma_f64 v[46:47], v[54:55], s[12:13], v[46:47]
	v_fma_f64 v[4:5], v[8:9], s[14:15], v[4:5]
	s_delay_alu instid0(VALU_DEP_4) | instskip(SKIP_4) | instid1(VALU_DEP_4)
	v_fma_f64 v[8:9], v[8:9], s[14:15], v[44:45]
	v_add_f64_e32 v[44:45], v[16:17], v[20:21]
	v_fma_f64 v[6:7], v[10:11], s[14:15], v[6:7]
	v_fma_f64 v[10:11], v[10:11], s[14:15], v[46:47]
	v_add_f64_e32 v[46:47], v[18:19], v[22:23]
	v_fma_f64 v[44:45], v[44:45], -0.5, v[0:1]
	v_add_f64_e32 v[0:1], v[0:1], v[12:13]
	v_add_f64_e64 v[12:13], v[12:13], -v[16:17]
	s_delay_alu instid0(VALU_DEP_4) | instskip(SKIP_4) | instid1(VALU_DEP_4)
	v_fma_f64 v[46:47], v[46:47], -0.5, v[2:3]
	v_add_f64_e32 v[2:3], v[2:3], v[14:15]
	v_add_f64_e64 v[14:15], v[14:15], -v[18:19]
	v_add_f64_e32 v[0:1], v[0:1], v[16:17]
	v_add_f64_e64 v[16:17], v[24:25], -v[20:21]
	;; [unrolled: 2-line block ×3, first 2 shown]
	s_delay_alu instid0(VALU_DEP_4)
	v_add_f64_e32 v[0:1], v[0:1], v[20:21]
	v_fma_f64 v[20:21], v[50:51], s[18:19], v[44:45]
	v_add_f64_e32 v[16:17], v[12:13], v[16:17]
	v_add_f64_e32 v[2:3], v[2:3], v[22:23]
	v_fma_f64 v[22:23], v[50:51], s[16:17], v[44:45]
	v_add_f64_e32 v[0:1], v[0:1], v[24:25]
	v_fma_f64 v[24:25], v[54:55], s[16:17], v[46:47]
	;; [unrolled: 2-line block ×4, first 2 shown]
	v_fma_f64 v[20:21], v[48:49], s[2:3], v[22:23]
	v_fma_f64 v[14:15], v[52:53], s[2:3], v[24:25]
	;; [unrolled: 1-line block ×3, first 2 shown]
	s_delay_alu instid0(VALU_DEP_4) | instskip(NEXT) | instid1(VALU_DEP_4)
	v_fma_f64 v[22:23], v[52:53], s[12:13], v[26:27]
	v_fma_f64 v[16:17], v[16:17], s[14:15], v[20:21]
	s_delay_alu instid0(VALU_DEP_4) | instskip(NEXT) | instid1(VALU_DEP_3)
	v_fma_f64 v[14:15], v[18:19], s[14:15], v[14:15]
	v_fma_f64 v[18:19], v[18:19], s[14:15], v[22:23]
	ds_load_b128 v[20:23], v230 offset:4000
	ds_load_b128 v[24:27], v230 offset:2000
	global_wb scope:SCOPE_SE
	s_wait_dscnt 0x0
	s_barrier_signal -1
	s_barrier_wait -1
	global_inv scope:SCOPE_SE
	ds_store_b128 v240, v[0:3]
	ds_store_b128 v240, v[12:15] offset:80
	ds_store_b128 v240, v[4:7] offset:160
	;; [unrolled: 1-line block ×4, first 2 shown]
	v_add_f64_e64 v[0:1], v[32:33], -v[28:29]
	v_add_f64_e64 v[2:3], v[36:37], -v[40:41]
	;; [unrolled: 1-line block ×6, first 2 shown]
	v_add_f64_e32 v[4:5], v[0:1], v[2:3]
	v_add_f64_e64 v[0:1], v[34:35], -v[30:31]
	v_add_f64_e64 v[2:3], v[38:39], -v[42:43]
	s_delay_alu instid0(VALU_DEP_1) | instskip(SKIP_1) | instid1(VALU_DEP_1)
	v_add_f64_e32 v[6:7], v[0:1], v[2:3]
	v_add_f64_e32 v[0:1], v[28:29], v[40:41]
	v_fma_f64 v[8:9], v[0:1], -0.5, v[24:25]
	v_add_f64_e32 v[0:1], v[30:31], v[42:43]
	s_delay_alu instid0(VALU_DEP_1) | instskip(NEXT) | instid1(VALU_DEP_3)
	v_fma_f64 v[10:11], v[0:1], -0.5, v[26:27]
	v_fma_f64 v[0:1], v[12:13], s[16:17], v[8:9]
	v_fma_f64 v[8:9], v[12:13], s[18:19], v[8:9]
	s_delay_alu instid0(VALU_DEP_3) | instskip(NEXT) | instid1(VALU_DEP_3)
	v_fma_f64 v[2:3], v[16:17], s[18:19], v[10:11]
	v_fma_f64 v[0:1], v[14:15], s[12:13], v[0:1]
	s_delay_alu instid0(VALU_DEP_3) | instskip(SKIP_1) | instid1(VALU_DEP_4)
	v_fma_f64 v[8:9], v[14:15], s[2:3], v[8:9]
	v_fma_f64 v[10:11], v[16:17], s[16:17], v[10:11]
	;; [unrolled: 1-line block ×3, first 2 shown]
	s_delay_alu instid0(VALU_DEP_4) | instskip(NEXT) | instid1(VALU_DEP_4)
	v_fma_f64 v[0:1], v[4:5], s[14:15], v[0:1]
	v_fma_f64 v[4:5], v[4:5], s[14:15], v[8:9]
	v_add_f64_e32 v[8:9], v[32:33], v[36:37]
	v_fma_f64 v[10:11], v[18:19], s[12:13], v[10:11]
	v_fma_f64 v[2:3], v[6:7], s[14:15], v[2:3]
	s_delay_alu instid0(VALU_DEP_3) | instskip(SKIP_1) | instid1(VALU_DEP_4)
	v_fma_f64 v[44:45], v[8:9], -0.5, v[24:25]
	v_add_f64_e32 v[8:9], v[34:35], v[38:39]
	v_fma_f64 v[6:7], v[6:7], s[14:15], v[10:11]
	v_add_f64_e32 v[10:11], v[26:27], v[30:31]
	s_delay_alu instid0(VALU_DEP_3) | instskip(SKIP_1) | instid1(VALU_DEP_3)
	v_fma_f64 v[46:47], v[8:9], -0.5, v[26:27]
	v_add_f64_e32 v[8:9], v[24:25], v[28:29]
	v_add_f64_e32 v[10:11], v[10:11], v[34:35]
	v_add_f64_e64 v[24:25], v[28:29], -v[32:33]
	v_add_f64_e64 v[26:27], v[30:31], -v[34:35]
	;; [unrolled: 1-line block ×4, first 2 shown]
	v_fma_f64 v[34:35], v[18:19], s[16:17], v[46:47]
	v_add_f64_e32 v[8:9], v[8:9], v[32:33]
	v_fma_f64 v[32:33], v[14:15], s[18:19], v[44:45]
	v_fma_f64 v[14:15], v[14:15], s[16:17], v[44:45]
	v_fma_f64 v[18:19], v[18:19], s[18:19], v[46:47]
	v_add_f64_e32 v[10:11], v[10:11], v[38:39]
	v_add_f64_e32 v[24:25], v[24:25], v[28:29]
	;; [unrolled: 1-line block ×4, first 2 shown]
	v_fma_f64 v[28:29], v[12:13], s[12:13], v[32:33]
	v_fma_f64 v[30:31], v[12:13], s[2:3], v[14:15]
	;; [unrolled: 1-line block ×4, first 2 shown]
	v_add_f64_e32 v[10:11], v[10:11], v[42:43]
	v_add_f64_e32 v[8:9], v[8:9], v[40:41]
	v_fma_f64 v[12:13], v[24:25], s[14:15], v[28:29]
	v_fma_f64 v[16:17], v[24:25], s[14:15], v[30:31]
	;; [unrolled: 1-line block ×4, first 2 shown]
	ds_store_b128 v228, v[8:11]
	ds_store_b128 v228, v[12:15] offset:80
	ds_store_b128 v228, v[0:3] offset:160
	;; [unrolled: 1-line block ×4, first 2 shown]
	v_add_f64_e64 v[0:1], v[64:65], -v[62:63]
	v_add_f64_e64 v[2:3], v[70:71], -v[72:73]
	;; [unrolled: 1-line block ×8, first 2 shown]
	v_add_f64_e32 v[4:5], v[0:1], v[2:3]
	v_add_f64_e64 v[0:1], v[66:67], -v[60:61]
	v_add_f64_e64 v[2:3], v[68:69], -v[74:75]
	s_delay_alu instid0(VALU_DEP_1) | instskip(SKIP_1) | instid1(VALU_DEP_1)
	v_add_f64_e32 v[6:7], v[0:1], v[2:3]
	v_add_f64_e32 v[0:1], v[62:63], v[72:73]
	v_fma_f64 v[8:9], v[0:1], -0.5, v[20:21]
	v_add_f64_e32 v[0:1], v[60:61], v[74:75]
	s_delay_alu instid0(VALU_DEP_1) | instskip(NEXT) | instid1(VALU_DEP_3)
	v_fma_f64 v[10:11], v[0:1], -0.5, v[22:23]
	v_fma_f64 v[0:1], v[12:13], s[16:17], v[8:9]
	v_fma_f64 v[8:9], v[12:13], s[18:19], v[8:9]
	s_delay_alu instid0(VALU_DEP_3) | instskip(NEXT) | instid1(VALU_DEP_3)
	v_fma_f64 v[2:3], v[16:17], s[18:19], v[10:11]
	v_fma_f64 v[0:1], v[14:15], s[12:13], v[0:1]
	s_delay_alu instid0(VALU_DEP_3) | instskip(SKIP_1) | instid1(VALU_DEP_4)
	v_fma_f64 v[8:9], v[14:15], s[2:3], v[8:9]
	v_fma_f64 v[10:11], v[16:17], s[16:17], v[10:11]
	;; [unrolled: 1-line block ×3, first 2 shown]
	s_delay_alu instid0(VALU_DEP_4) | instskip(NEXT) | instid1(VALU_DEP_4)
	v_fma_f64 v[0:1], v[4:5], s[14:15], v[0:1]
	v_fma_f64 v[4:5], v[4:5], s[14:15], v[8:9]
	v_add_f64_e32 v[8:9], v[64:65], v[70:71]
	v_fma_f64 v[10:11], v[18:19], s[12:13], v[10:11]
	v_fma_f64 v[2:3], v[6:7], s[14:15], v[2:3]
	s_delay_alu instid0(VALU_DEP_3) | instskip(SKIP_1) | instid1(VALU_DEP_4)
	v_fma_f64 v[24:25], v[8:9], -0.5, v[20:21]
	v_add_f64_e32 v[8:9], v[66:67], v[68:69]
	v_fma_f64 v[6:7], v[6:7], s[14:15], v[10:11]
	v_add_f64_e32 v[10:11], v[22:23], v[60:61]
	s_delay_alu instid0(VALU_DEP_4) | instskip(NEXT) | instid1(VALU_DEP_4)
	v_fma_f64 v[32:33], v[14:15], s[18:19], v[24:25]
	v_fma_f64 v[26:27], v[8:9], -0.5, v[22:23]
	v_add_f64_e32 v[8:9], v[20:21], v[62:63]
	s_delay_alu instid0(VALU_DEP_4)
	v_add_f64_e32 v[10:11], v[10:11], v[66:67]
	v_add_f64_e64 v[20:21], v[62:63], -v[64:65]
	v_add_f64_e64 v[22:23], v[60:61], -v[66:67]
	v_fma_f64 v[14:15], v[14:15], s[16:17], v[24:25]
	v_fma_f64 v[24:25], v[18:19], s[16:17], v[26:27]
	v_add_f64_e32 v[8:9], v[8:9], v[64:65]
	v_fma_f64 v[18:19], v[18:19], s[18:19], v[26:27]
	v_add_f64_e32 v[10:11], v[10:11], v[68:69]
	v_add_f64_e32 v[20:21], v[20:21], v[28:29]
	v_add_f64_e32 v[22:23], v[22:23], v[30:31]
	v_fma_f64 v[26:27], v[12:13], s[12:13], v[32:33]
	v_fma_f64 v[28:29], v[12:13], s[2:3], v[14:15]
	;; [unrolled: 1-line block ×3, first 2 shown]
	v_add_f64_e32 v[8:9], v[8:9], v[70:71]
	v_fma_f64 v[18:19], v[16:17], s[12:13], v[18:19]
	v_add_f64_e32 v[10:11], v[10:11], v[74:75]
	v_fma_f64 v[12:13], v[20:21], s[14:15], v[26:27]
	v_fma_f64 v[16:17], v[20:21], s[14:15], v[28:29]
	;; [unrolled: 1-line block ×3, first 2 shown]
	v_add_f64_e32 v[8:9], v[8:9], v[72:73]
	v_fma_f64 v[18:19], v[22:23], s[14:15], v[18:19]
	ds_store_b128 v254, v[8:11]
	ds_store_b128 v254, v[12:15] offset:80
	ds_store_b128 v254, v[0:3] offset:160
	;; [unrolled: 1-line block ×4, first 2 shown]
	global_wb scope:SCOPE_SE
	s_wait_dscnt 0x0
	s_barrier_signal -1
	s_barrier_wait -1
	global_inv scope:SCOPE_SE
	ds_load_b128 v[0:3], v230 offset:6000
	s_wait_dscnt 0x0
	v_mul_f64_e32 v[4:5], v[238:239], v[2:3]
	s_delay_alu instid0(VALU_DEP_1) | instskip(SKIP_1) | instid1(VALU_DEP_1)
	v_fma_f64 v[12:13], v[236:237], v[0:1], v[4:5]
	v_mul_f64_e32 v[0:1], v[238:239], v[0:1]
	v_fma_f64 v[14:15], v[236:237], v[2:3], -v[0:1]
	ds_load_b128 v[0:3], v230 offset:12000
	s_wait_dscnt 0x0
	v_mul_f64_e32 v[4:5], v[142:143], v[2:3]
	s_delay_alu instid0(VALU_DEP_1) | instskip(SKIP_1) | instid1(VALU_DEP_1)
	v_fma_f64 v[16:17], v[140:141], v[0:1], v[4:5]
	v_mul_f64_e32 v[0:1], v[142:143], v[0:1]
	v_fma_f64 v[18:19], v[140:141], v[2:3], -v[0:1]
	ds_load_b128 v[0:3], v230 offset:18000
	s_wait_dscnt 0x0
	v_mul_f64_e32 v[4:5], v[138:139], v[2:3]
	s_delay_alu instid0(VALU_DEP_1) | instskip(SKIP_1) | instid1(VALU_DEP_2)
	v_fma_f64 v[20:21], v[136:137], v[0:1], v[4:5]
	v_mul_f64_e32 v[0:1], v[138:139], v[0:1]
	v_add_f64_e64 v[36:37], v[16:17], -v[20:21]
	s_delay_alu instid0(VALU_DEP_2) | instskip(SKIP_4) | instid1(VALU_DEP_2)
	v_fma_f64 v[22:23], v[136:137], v[2:3], -v[0:1]
	ds_load_b128 v[0:3], v230 offset:24000
	s_wait_dscnt 0x0
	v_mul_f64_e32 v[4:5], v[150:151], v[2:3]
	v_add_f64_e64 v[32:33], v[18:19], -v[22:23]
	v_fma_f64 v[24:25], v[148:149], v[0:1], v[4:5]
	v_mul_f64_e32 v[0:1], v[150:151], v[0:1]
	s_delay_alu instid0(VALU_DEP_2) | instskip(NEXT) | instid1(VALU_DEP_2)
	v_add_f64_e64 v[38:39], v[12:13], -v[24:25]
	v_fma_f64 v[26:27], v[148:149], v[2:3], -v[0:1]
	ds_load_b128 v[0:3], v230 offset:8000
	s_wait_dscnt 0x0
	v_mul_f64_e32 v[4:5], v[158:159], v[2:3]
	v_add_f64_e64 v[34:35], v[14:15], -v[26:27]
	s_delay_alu instid0(VALU_DEP_2) | instskip(SKIP_1) | instid1(VALU_DEP_1)
	v_fma_f64 v[78:79], v[156:157], v[0:1], v[4:5]
	v_mul_f64_e32 v[0:1], v[158:159], v[0:1]
	v_fma_f64 v[76:77], v[156:157], v[2:3], -v[0:1]
	ds_load_b128 v[0:3], v230 offset:14000
	s_wait_dscnt 0x0
	v_mul_f64_e32 v[4:5], v[154:155], v[2:3]
	s_delay_alu instid0(VALU_DEP_1) | instskip(SKIP_1) | instid1(VALU_DEP_1)
	v_fma_f64 v[82:83], v[152:153], v[0:1], v[4:5]
	v_mul_f64_e32 v[0:1], v[154:155], v[0:1]
	v_fma_f64 v[84:85], v[152:153], v[2:3], -v[0:1]
	ds_load_b128 v[0:3], v230 offset:20000
	s_wait_dscnt 0x0
	v_mul_f64_e32 v[4:5], v[166:167], v[2:3]
	s_delay_alu instid0(VALU_DEP_1) | instskip(SKIP_1) | instid1(VALU_DEP_1)
	;; [unrolled: 7-line block ×6, first 2 shown]
	v_fma_f64 v[68:69], v[208:209], v[0:1], v[4:5]
	v_mul_f64_e32 v[0:1], v[210:211], v[0:1]
	v_fma_f64 v[70:71], v[208:209], v[2:3], -v[0:1]
	ds_load_b128 v[0:3], v230 offset:28000
	s_wait_dscnt 0x0
	v_mul_f64_e32 v[4:5], v[214:215], v[2:3]
	s_delay_alu instid0(VALU_DEP_1) | instskip(SKIP_2) | instid1(VALU_DEP_2)
	v_fma_f64 v[72:73], v[212:213], v[0:1], v[4:5]
	v_mul_f64_e32 v[0:1], v[214:215], v[0:1]
	v_add_f64_e32 v[4:5], v[12:13], v[24:25]
	v_fma_f64 v[74:75], v[212:213], v[2:3], -v[0:1]
	v_add_f64_e64 v[0:1], v[16:17], -v[12:13]
	v_add_f64_e64 v[2:3], v[20:21], -v[24:25]
	s_delay_alu instid0(VALU_DEP_1) | instskip(SKIP_2) | instid1(VALU_DEP_1)
	v_add_f64_e32 v[8:9], v[0:1], v[2:3]
	v_add_f64_e64 v[0:1], v[18:19], -v[14:15]
	v_add_f64_e64 v[2:3], v[22:23], -v[26:27]
	v_add_f64_e32 v[10:11], v[0:1], v[2:3]
	ds_load_b128 v[0:3], v230
	s_wait_dscnt 0x0
	v_fma_f64 v[28:29], v[4:5], -0.5, v[0:1]
	v_add_f64_e32 v[4:5], v[14:15], v[26:27]
	s_delay_alu instid0(VALU_DEP_1) | instskip(NEXT) | instid1(VALU_DEP_3)
	v_fma_f64 v[30:31], v[4:5], -0.5, v[2:3]
	v_fma_f64 v[4:5], v[32:33], s[16:17], v[28:29]
	v_fma_f64 v[28:29], v[32:33], s[18:19], v[28:29]
	s_delay_alu instid0(VALU_DEP_3) | instskip(SKIP_1) | instid1(VALU_DEP_4)
	v_fma_f64 v[6:7], v[36:37], s[18:19], v[30:31]
	v_fma_f64 v[30:31], v[36:37], s[16:17], v[30:31]
	;; [unrolled: 1-line block ×3, first 2 shown]
	s_delay_alu instid0(VALU_DEP_4) | instskip(NEXT) | instid1(VALU_DEP_4)
	v_fma_f64 v[28:29], v[34:35], s[2:3], v[28:29]
	v_fma_f64 v[6:7], v[38:39], s[2:3], v[6:7]
	s_delay_alu instid0(VALU_DEP_4) | instskip(NEXT) | instid1(VALU_DEP_4)
	v_fma_f64 v[30:31], v[38:39], s[12:13], v[30:31]
	v_fma_f64 v[4:5], v[8:9], s[14:15], v[4:5]
	s_delay_alu instid0(VALU_DEP_4) | instskip(SKIP_4) | instid1(VALU_DEP_4)
	v_fma_f64 v[8:9], v[8:9], s[14:15], v[28:29]
	v_add_f64_e32 v[28:29], v[16:17], v[20:21]
	v_fma_f64 v[6:7], v[10:11], s[14:15], v[6:7]
	v_fma_f64 v[10:11], v[10:11], s[14:15], v[30:31]
	v_add_f64_e32 v[30:31], v[18:19], v[22:23]
	v_fma_f64 v[28:29], v[28:29], -0.5, v[0:1]
	v_add_f64_e32 v[0:1], v[0:1], v[12:13]
	v_add_f64_e64 v[12:13], v[12:13], -v[16:17]
	s_delay_alu instid0(VALU_DEP_4) | instskip(SKIP_4) | instid1(VALU_DEP_4)
	v_fma_f64 v[30:31], v[30:31], -0.5, v[2:3]
	v_add_f64_e32 v[2:3], v[2:3], v[14:15]
	v_add_f64_e64 v[14:15], v[14:15], -v[18:19]
	v_add_f64_e32 v[0:1], v[0:1], v[16:17]
	v_add_f64_e64 v[16:17], v[24:25], -v[20:21]
	;; [unrolled: 2-line block ×3, first 2 shown]
	s_delay_alu instid0(VALU_DEP_4)
	v_add_f64_e32 v[0:1], v[0:1], v[20:21]
	v_fma_f64 v[20:21], v[34:35], s[18:19], v[28:29]
	v_add_f64_e32 v[16:17], v[12:13], v[16:17]
	v_add_f64_e32 v[2:3], v[2:3], v[22:23]
	v_fma_f64 v[22:23], v[34:35], s[16:17], v[28:29]
	v_add_f64_e32 v[0:1], v[0:1], v[24:25]
	v_fma_f64 v[24:25], v[38:39], s[16:17], v[30:31]
	;; [unrolled: 2-line block ×3, first 2 shown]
	v_add_f64_e64 v[34:35], v[90:91], -v[80:81]
	v_add_f64_e32 v[2:3], v[2:3], v[26:27]
	v_fma_f64 v[26:27], v[38:39], s[18:19], v[30:31]
	v_fma_f64 v[20:21], v[32:33], s[2:3], v[22:23]
	;; [unrolled: 1-line block ×3, first 2 shown]
	v_add_f64_e64 v[32:33], v[88:89], -v[86:87]
	v_fma_f64 v[12:13], v[16:17], s[14:15], v[12:13]
	v_fma_f64 v[22:23], v[36:37], s[12:13], v[26:27]
	;; [unrolled: 1-line block ×4, first 2 shown]
	s_delay_alu instid0(VALU_DEP_3)
	v_fma_f64 v[18:19], v[18:19], s[14:15], v[22:23]
	ds_load_b128 v[20:23], v230 offset:4000
	ds_load_b128 v[24:27], v230 offset:2000
	global_wb scope:SCOPE_SE
	s_wait_dscnt 0x0
	s_barrier_signal -1
	s_barrier_wait -1
	global_inv scope:SCOPE_SE
	ds_store_b128 v241, v[0:3]
	ds_store_b128 v241, v[12:15] offset:400
	ds_store_b128 v241, v[4:7] offset:800
	;; [unrolled: 1-line block ×4, first 2 shown]
	v_add_f64_e64 v[0:1], v[82:83], -v[78:79]
	v_add_f64_e64 v[2:3], v[86:87], -v[88:89]
	;; [unrolled: 1-line block ×6, first 2 shown]
	v_add_f64_e32 v[4:5], v[0:1], v[2:3]
	v_add_f64_e64 v[0:1], v[84:85], -v[76:77]
	v_add_f64_e64 v[2:3], v[80:81], -v[90:91]
	s_delay_alu instid0(VALU_DEP_1) | instskip(SKIP_1) | instid1(VALU_DEP_1)
	v_add_f64_e32 v[6:7], v[0:1], v[2:3]
	v_add_f64_e32 v[0:1], v[78:79], v[88:89]
	v_fma_f64 v[8:9], v[0:1], -0.5, v[24:25]
	v_add_f64_e32 v[0:1], v[76:77], v[90:91]
	s_delay_alu instid0(VALU_DEP_1) | instskip(NEXT) | instid1(VALU_DEP_3)
	v_fma_f64 v[10:11], v[0:1], -0.5, v[26:27]
	v_fma_f64 v[0:1], v[12:13], s[16:17], v[8:9]
	v_fma_f64 v[8:9], v[12:13], s[18:19], v[8:9]
	s_delay_alu instid0(VALU_DEP_3) | instskip(NEXT) | instid1(VALU_DEP_3)
	v_fma_f64 v[2:3], v[16:17], s[18:19], v[10:11]
	v_fma_f64 v[0:1], v[14:15], s[12:13], v[0:1]
	s_delay_alu instid0(VALU_DEP_3) | instskip(SKIP_1) | instid1(VALU_DEP_4)
	v_fma_f64 v[8:9], v[14:15], s[2:3], v[8:9]
	v_fma_f64 v[10:11], v[16:17], s[16:17], v[10:11]
	;; [unrolled: 1-line block ×3, first 2 shown]
	s_delay_alu instid0(VALU_DEP_4) | instskip(NEXT) | instid1(VALU_DEP_4)
	v_fma_f64 v[0:1], v[4:5], s[14:15], v[0:1]
	v_fma_f64 v[4:5], v[4:5], s[14:15], v[8:9]
	v_add_f64_e32 v[8:9], v[82:83], v[86:87]
	v_fma_f64 v[10:11], v[18:19], s[12:13], v[10:11]
	v_fma_f64 v[2:3], v[6:7], s[14:15], v[2:3]
	s_delay_alu instid0(VALU_DEP_3) | instskip(SKIP_1) | instid1(VALU_DEP_4)
	v_fma_f64 v[28:29], v[8:9], -0.5, v[24:25]
	v_add_f64_e32 v[8:9], v[84:85], v[80:81]
	v_fma_f64 v[6:7], v[6:7], s[14:15], v[10:11]
	v_add_f64_e32 v[10:11], v[26:27], v[76:77]
	s_delay_alu instid0(VALU_DEP_4) | instskip(NEXT) | instid1(VALU_DEP_4)
	v_fma_f64 v[36:37], v[14:15], s[18:19], v[28:29]
	v_fma_f64 v[30:31], v[8:9], -0.5, v[26:27]
	v_add_f64_e32 v[8:9], v[24:25], v[78:79]
	v_add_f64_e64 v[24:25], v[78:79], -v[82:83]
	v_fma_f64 v[14:15], v[14:15], s[16:17], v[28:29]
	v_add_f64_e32 v[10:11], v[10:11], v[84:85]
	v_add_f64_e64 v[26:27], v[76:77], -v[84:85]
	v_fma_f64 v[28:29], v[18:19], s[16:17], v[30:31]
	v_fma_f64 v[18:19], v[18:19], s[18:19], v[30:31]
	v_add_f64_e32 v[24:25], v[24:25], v[32:33]
	v_fma_f64 v[30:31], v[12:13], s[12:13], v[36:37]
	v_fma_f64 v[32:33], v[12:13], s[2:3], v[14:15]
	v_add_f64_e32 v[8:9], v[8:9], v[82:83]
	v_add_f64_e32 v[10:11], v[10:11], v[80:81]
	;; [unrolled: 1-line block ×3, first 2 shown]
	v_fma_f64 v[14:15], v[16:17], s[2:3], v[28:29]
	v_fma_f64 v[18:19], v[16:17], s[12:13], v[18:19]
	v_add_f64_e64 v[28:29], v[72:73], -v[68:69]
	v_fma_f64 v[12:13], v[24:25], s[14:15], v[30:31]
	v_fma_f64 v[16:17], v[24:25], s[14:15], v[32:33]
	scratch_load_b32 v24, off, off offset:464 th:TH_LOAD_LU ; 4-byte Folded Reload
	v_add_f64_e32 v[8:9], v[8:9], v[86:87]
	v_add_f64_e32 v[10:11], v[10:11], v[90:91]
	v_add_f64_e64 v[30:31], v[74:75], -v[70:71]
	v_fma_f64 v[14:15], v[26:27], s[14:15], v[14:15]
	v_fma_f64 v[18:19], v[26:27], s[14:15], v[18:19]
	v_add_f64_e32 v[8:9], v[8:9], v[88:89]
	s_wait_loadcnt 0x0
	ds_store_b128 v24, v[8:11]
	ds_store_b128 v24, v[12:15] offset:400
	ds_store_b128 v24, v[0:3] offset:800
	ds_store_b128 v24, v[4:7] offset:1200
	ds_store_b128 v24, v[16:19] offset:1600
	v_add_f64_e64 v[0:1], v[64:65], -v[62:63]
	v_add_f64_e64 v[2:3], v[68:69], -v[72:73]
	;; [unrolled: 1-line block ×6, first 2 shown]
	v_add_f64_e32 v[4:5], v[0:1], v[2:3]
	v_add_f64_e64 v[0:1], v[66:67], -v[60:61]
	v_add_f64_e64 v[2:3], v[70:71], -v[74:75]
	s_delay_alu instid0(VALU_DEP_1) | instskip(SKIP_1) | instid1(VALU_DEP_1)
	v_add_f64_e32 v[6:7], v[0:1], v[2:3]
	v_add_f64_e32 v[0:1], v[62:63], v[72:73]
	v_fma_f64 v[8:9], v[0:1], -0.5, v[20:21]
	v_add_f64_e32 v[0:1], v[60:61], v[74:75]
	s_delay_alu instid0(VALU_DEP_1) | instskip(NEXT) | instid1(VALU_DEP_3)
	v_fma_f64 v[10:11], v[0:1], -0.5, v[22:23]
	v_fma_f64 v[0:1], v[12:13], s[16:17], v[8:9]
	v_fma_f64 v[8:9], v[12:13], s[18:19], v[8:9]
	s_delay_alu instid0(VALU_DEP_3) | instskip(NEXT) | instid1(VALU_DEP_3)
	v_fma_f64 v[2:3], v[16:17], s[18:19], v[10:11]
	v_fma_f64 v[0:1], v[14:15], s[12:13], v[0:1]
	s_delay_alu instid0(VALU_DEP_3) | instskip(SKIP_1) | instid1(VALU_DEP_4)
	v_fma_f64 v[8:9], v[14:15], s[2:3], v[8:9]
	v_fma_f64 v[10:11], v[16:17], s[16:17], v[10:11]
	v_fma_f64 v[2:3], v[18:19], s[2:3], v[2:3]
	s_delay_alu instid0(VALU_DEP_4) | instskip(NEXT) | instid1(VALU_DEP_4)
	v_fma_f64 v[0:1], v[4:5], s[14:15], v[0:1]
	v_fma_f64 v[4:5], v[4:5], s[14:15], v[8:9]
	v_add_f64_e32 v[8:9], v[64:65], v[68:69]
	v_fma_f64 v[10:11], v[18:19], s[12:13], v[10:11]
	v_fma_f64 v[2:3], v[6:7], s[14:15], v[2:3]
	s_delay_alu instid0(VALU_DEP_3) | instskip(SKIP_1) | instid1(VALU_DEP_4)
	v_fma_f64 v[24:25], v[8:9], -0.5, v[20:21]
	v_add_f64_e32 v[8:9], v[66:67], v[70:71]
	v_fma_f64 v[6:7], v[6:7], s[14:15], v[10:11]
	v_add_f64_e32 v[10:11], v[22:23], v[60:61]
	s_delay_alu instid0(VALU_DEP_4) | instskip(NEXT) | instid1(VALU_DEP_4)
	v_fma_f64 v[32:33], v[14:15], s[18:19], v[24:25]
	v_fma_f64 v[26:27], v[8:9], -0.5, v[22:23]
	v_add_f64_e32 v[8:9], v[20:21], v[62:63]
	s_delay_alu instid0(VALU_DEP_4)
	v_add_f64_e32 v[10:11], v[10:11], v[66:67]
	v_add_f64_e64 v[20:21], v[62:63], -v[64:65]
	v_add_f64_e64 v[22:23], v[60:61], -v[66:67]
	v_fma_f64 v[14:15], v[14:15], s[16:17], v[24:25]
	v_fma_f64 v[24:25], v[18:19], s[16:17], v[26:27]
	v_add_f64_e32 v[8:9], v[8:9], v[64:65]
	v_fma_f64 v[18:19], v[18:19], s[18:19], v[26:27]
	v_add_f64_e32 v[10:11], v[10:11], v[70:71]
	v_add_f64_e32 v[20:21], v[20:21], v[28:29]
	;; [unrolled: 1-line block ×3, first 2 shown]
	v_fma_f64 v[26:27], v[12:13], s[12:13], v[32:33]
	v_fma_f64 v[28:29], v[12:13], s[2:3], v[14:15]
	;; [unrolled: 1-line block ×3, first 2 shown]
	v_add_f64_e32 v[8:9], v[8:9], v[68:69]
	v_fma_f64 v[18:19], v[16:17], s[12:13], v[18:19]
	v_add_f64_e32 v[10:11], v[10:11], v[74:75]
	v_fma_f64 v[12:13], v[20:21], s[14:15], v[26:27]
	v_fma_f64 v[16:17], v[20:21], s[14:15], v[28:29]
	;; [unrolled: 1-line block ×3, first 2 shown]
	v_add_f64_e32 v[8:9], v[8:9], v[72:73]
	v_fma_f64 v[18:19], v[22:23], s[14:15], v[18:19]
	ds_store_b128 v255, v[8:11]
	ds_store_b128 v255, v[12:15] offset:400
	ds_store_b128 v255, v[0:3] offset:800
	;; [unrolled: 1-line block ×4, first 2 shown]
	global_wb scope:SCOPE_SE
	s_wait_dscnt 0x0
	s_barrier_signal -1
	s_barrier_wait -1
	global_inv scope:SCOPE_SE
	ds_load_b128 v[0:3], v230 offset:6000
	s_wait_dscnt 0x0
	v_mul_f64_e32 v[4:5], v[122:123], v[2:3]
	s_delay_alu instid0(VALU_DEP_1) | instskip(SKIP_1) | instid1(VALU_DEP_1)
	v_fma_f64 v[12:13], v[120:121], v[0:1], v[4:5]
	v_mul_f64_e32 v[0:1], v[122:123], v[0:1]
	v_fma_f64 v[14:15], v[120:121], v[2:3], -v[0:1]
	ds_load_b128 v[0:3], v230 offset:8000
	s_wait_dscnt 0x0
	v_mul_f64_e32 v[4:5], v[122:123], v[2:3]
	s_delay_alu instid0(VALU_DEP_1) | instskip(SKIP_1) | instid1(VALU_DEP_1)
	v_fma_f64 v[32:33], v[120:121], v[0:1], v[4:5]
	v_mul_f64_e32 v[0:1], v[122:123], v[0:1]
	v_fma_f64 v[34:35], v[120:121], v[2:3], -v[0:1]
	;; [unrolled: 7-line block ×4, first 2 shown]
	ds_load_b128 v[0:3], v230 offset:18000
	s_wait_dscnt 0x0
	v_mul_f64_e32 v[4:5], v[198:199], v[2:3]
	s_delay_alu instid0(VALU_DEP_1) | instskip(SKIP_1) | instid1(VALU_DEP_2)
	v_fma_f64 v[20:21], v[196:197], v[0:1], v[4:5]
	v_mul_f64_e32 v[0:1], v[198:199], v[0:1]
	v_add_f64_e64 v[54:55], v[16:17], -v[20:21]
	s_delay_alu instid0(VALU_DEP_2) | instskip(SKIP_4) | instid1(VALU_DEP_2)
	v_fma_f64 v[22:23], v[196:197], v[2:3], -v[0:1]
	ds_load_b128 v[0:3], v230 offset:20000
	s_wait_dscnt 0x0
	v_mul_f64_e32 v[4:5], v[198:199], v[2:3]
	v_add_f64_e64 v[50:51], v[18:19], -v[22:23]
	v_fma_f64 v[40:41], v[196:197], v[0:1], v[4:5]
	v_mul_f64_e32 v[0:1], v[198:199], v[0:1]
	s_delay_alu instid0(VALU_DEP_2) | instskip(NEXT) | instid1(VALU_DEP_2)
	v_add_f64_e64 v[58:59], v[36:37], -v[40:41]
	v_fma_f64 v[42:43], v[196:197], v[2:3], -v[0:1]
	ds_load_b128 v[0:3], v230 offset:24000
	s_wait_dscnt 0x0
	v_mul_f64_e32 v[4:5], v[194:195], v[0:1]
	s_delay_alu instid0(VALU_DEP_1) | instskip(SKIP_1) | instid1(VALU_DEP_2)
	v_fma_f64 v[24:25], v[192:193], v[2:3], -v[4:5]
	v_mul_f64_e32 v[2:3], v[194:195], v[2:3]
	v_add_f64_e64 v[48:49], v[14:15], -v[24:25]
	s_delay_alu instid0(VALU_DEP_2) | instskip(SKIP_4) | instid1(VALU_DEP_2)
	v_fma_f64 v[26:27], v[192:193], v[0:1], v[2:3]
	ds_load_b128 v[0:3], v230 offset:26000
	s_wait_dscnt 0x0
	v_mul_f64_e32 v[4:5], v[194:195], v[2:3]
	v_add_f64_e64 v[52:53], v[12:13], -v[26:27]
	v_fma_f64 v[44:45], v[192:193], v[0:1], v[4:5]
	v_mul_f64_e32 v[0:1], v[194:195], v[0:1]
	s_delay_alu instid0(VALU_DEP_2) | instskip(NEXT) | instid1(VALU_DEP_2)
	v_add_f64_e64 v[56:57], v[32:33], -v[44:45]
	v_fma_f64 v[46:47], v[192:193], v[2:3], -v[0:1]
	ds_load_b128 v[0:3], v230 offset:10000
	s_wait_dscnt 0x0
	v_mul_f64_e32 v[4:5], v[206:207], v[2:3]
	s_delay_alu instid0(VALU_DEP_1) | instskip(SKIP_1) | instid1(VALU_DEP_1)
	v_fma_f64 v[62:63], v[204:205], v[0:1], v[4:5]
	v_mul_f64_e32 v[0:1], v[206:207], v[0:1]
	v_fma_f64 v[60:61], v[204:205], v[2:3], -v[0:1]
	ds_load_b128 v[0:3], v230 offset:16000
	s_wait_dscnt 0x0
	v_mul_f64_e32 v[4:5], v[218:219], v[2:3]
	s_delay_alu instid0(VALU_DEP_1) | instskip(SKIP_1) | instid1(VALU_DEP_1)
	v_fma_f64 v[64:65], v[216:217], v[0:1], v[4:5]
	v_mul_f64_e32 v[0:1], v[218:219], v[0:1]
	v_fma_f64 v[68:69], v[216:217], v[2:3], -v[0:1]
	ds_load_b128 v[0:3], v230 offset:22000
	s_wait_dscnt 0x0
	v_mul_f64_e32 v[4:5], v[222:223], v[2:3]
	s_delay_alu instid0(VALU_DEP_1) | instskip(SKIP_1) | instid1(VALU_DEP_2)
	v_fma_f64 v[70:71], v[220:221], v[0:1], v[4:5]
	v_mul_f64_e32 v[0:1], v[222:223], v[0:1]
	v_add_f64_e64 v[76:77], v[64:65], -v[70:71]
	s_delay_alu instid0(VALU_DEP_2) | instskip(SKIP_3) | instid1(VALU_DEP_1)
	v_fma_f64 v[66:67], v[220:221], v[2:3], -v[0:1]
	ds_load_b128 v[0:3], v230 offset:28000
	s_wait_dscnt 0x0
	v_mul_f64_e32 v[4:5], v[226:227], v[2:3]
	v_fma_f64 v[72:73], v[224:225], v[0:1], v[4:5]
	v_mul_f64_e32 v[0:1], v[226:227], v[0:1]
	v_add_f64_e32 v[4:5], v[16:17], v[20:21]
	s_delay_alu instid0(VALU_DEP_3) | instskip(NEXT) | instid1(VALU_DEP_3)
	v_add_f64_e64 v[78:79], v[62:63], -v[72:73]
	v_fma_f64 v[74:75], v[224:225], v[2:3], -v[0:1]
	v_add_f64_e64 v[0:1], v[12:13], -v[16:17]
	v_add_f64_e64 v[2:3], v[26:27], -v[20:21]
	s_delay_alu instid0(VALU_DEP_1) | instskip(SKIP_2) | instid1(VALU_DEP_1)
	v_add_f64_e32 v[8:9], v[0:1], v[2:3]
	v_add_f64_e64 v[0:1], v[14:15], -v[18:19]
	v_add_f64_e64 v[2:3], v[24:25], -v[22:23]
	v_add_f64_e32 v[10:11], v[0:1], v[2:3]
	ds_load_b128 v[0:3], v230
	s_wait_dscnt 0x0
	v_fma_f64 v[28:29], v[4:5], -0.5, v[0:1]
	v_add_f64_e32 v[4:5], v[18:19], v[22:23]
	s_delay_alu instid0(VALU_DEP_1) | instskip(NEXT) | instid1(VALU_DEP_3)
	v_fma_f64 v[30:31], v[4:5], -0.5, v[2:3]
	v_fma_f64 v[4:5], v[48:49], s[18:19], v[28:29]
	v_fma_f64 v[28:29], v[48:49], s[16:17], v[28:29]
	s_delay_alu instid0(VALU_DEP_3) | instskip(SKIP_1) | instid1(VALU_DEP_4)
	v_fma_f64 v[6:7], v[52:53], s[16:17], v[30:31]
	v_fma_f64 v[30:31], v[52:53], s[18:19], v[30:31]
	;; [unrolled: 1-line block ×3, first 2 shown]
	s_delay_alu instid0(VALU_DEP_4) | instskip(NEXT) | instid1(VALU_DEP_4)
	v_fma_f64 v[28:29], v[50:51], s[2:3], v[28:29]
	v_fma_f64 v[6:7], v[54:55], s[2:3], v[6:7]
	s_delay_alu instid0(VALU_DEP_4) | instskip(NEXT) | instid1(VALU_DEP_4)
	v_fma_f64 v[30:31], v[54:55], s[12:13], v[30:31]
	v_fma_f64 v[4:5], v[8:9], s[14:15], v[4:5]
	s_delay_alu instid0(VALU_DEP_4) | instskip(SKIP_4) | instid1(VALU_DEP_4)
	v_fma_f64 v[8:9], v[8:9], s[14:15], v[28:29]
	v_add_f64_e32 v[28:29], v[12:13], v[26:27]
	v_fma_f64 v[6:7], v[10:11], s[14:15], v[6:7]
	v_fma_f64 v[10:11], v[10:11], s[14:15], v[30:31]
	v_add_f64_e32 v[30:31], v[14:15], v[24:25]
	v_fma_f64 v[28:29], v[28:29], -0.5, v[0:1]
	v_add_f64_e32 v[0:1], v[0:1], v[12:13]
	v_add_f64_e64 v[12:13], v[16:17], -v[12:13]
	s_delay_alu instid0(VALU_DEP_4) | instskip(SKIP_4) | instid1(VALU_DEP_4)
	v_fma_f64 v[30:31], v[30:31], -0.5, v[2:3]
	v_add_f64_e32 v[2:3], v[2:3], v[14:15]
	v_add_f64_e64 v[14:15], v[18:19], -v[14:15]
	v_add_f64_e32 v[0:1], v[0:1], v[16:17]
	v_add_f64_e64 v[16:17], v[20:21], -v[26:27]
	;; [unrolled: 2-line block ×3, first 2 shown]
	s_delay_alu instid0(VALU_DEP_4)
	v_add_f64_e32 v[0:1], v[0:1], v[20:21]
	v_fma_f64 v[20:21], v[50:51], s[16:17], v[28:29]
	v_add_f64_e32 v[16:17], v[12:13], v[16:17]
	v_add_f64_e32 v[2:3], v[2:3], v[22:23]
	v_fma_f64 v[22:23], v[50:51], s[18:19], v[28:29]
	v_add_f64_e32 v[0:1], v[0:1], v[26:27]
	v_fma_f64 v[26:27], v[54:55], s[16:17], v[30:31]
	;; [unrolled: 2-line block ×4, first 2 shown]
	v_fma_f64 v[20:21], v[48:49], s[2:3], v[22:23]
	v_fma_f64 v[22:23], v[52:53], s[12:13], v[26:27]
	v_add_f64_e64 v[54:55], v[38:39], -v[42:43]
	v_fma_f64 v[12:13], v[16:17], s[14:15], v[12:13]
	v_fma_f64 v[14:15], v[52:53], s[2:3], v[24:25]
	;; [unrolled: 1-line block ×3, first 2 shown]
	v_add_f64_e64 v[20:21], v[32:33], -v[36:37]
	v_add_f64_e32 v[24:25], v[36:37], v[40:41]
	v_add_f64_e64 v[52:53], v[34:35], -v[46:47]
	v_fma_f64 v[14:15], v[18:19], s[14:15], v[14:15]
	v_fma_f64 v[18:19], v[18:19], s[14:15], v[22:23]
	v_add_f64_e64 v[22:23], v[44:45], -v[40:41]
	s_delay_alu instid0(VALU_DEP_1) | instskip(SKIP_2) | instid1(VALU_DEP_1)
	v_add_f64_e32 v[28:29], v[20:21], v[22:23]
	v_add_f64_e64 v[20:21], v[34:35], -v[38:39]
	v_add_f64_e64 v[22:23], v[46:47], -v[42:43]
	v_add_f64_e32 v[30:31], v[20:21], v[22:23]
	ds_load_b128 v[20:23], v230 offset:2000
	s_wait_dscnt 0x0
	v_fma_f64 v[48:49], v[24:25], -0.5, v[20:21]
	v_add_f64_e32 v[24:25], v[38:39], v[42:43]
	s_delay_alu instid0(VALU_DEP_1) | instskip(NEXT) | instid1(VALU_DEP_3)
	v_fma_f64 v[50:51], v[24:25], -0.5, v[22:23]
	v_fma_f64 v[24:25], v[52:53], s[18:19], v[48:49]
	v_fma_f64 v[48:49], v[52:53], s[16:17], v[48:49]
	s_delay_alu instid0(VALU_DEP_3) | instskip(SKIP_1) | instid1(VALU_DEP_4)
	v_fma_f64 v[26:27], v[56:57], s[16:17], v[50:51]
	v_fma_f64 v[50:51], v[56:57], s[18:19], v[50:51]
	;; [unrolled: 1-line block ×3, first 2 shown]
	s_delay_alu instid0(VALU_DEP_4) | instskip(NEXT) | instid1(VALU_DEP_4)
	v_fma_f64 v[48:49], v[54:55], s[2:3], v[48:49]
	v_fma_f64 v[26:27], v[58:59], s[2:3], v[26:27]
	s_delay_alu instid0(VALU_DEP_4) | instskip(NEXT) | instid1(VALU_DEP_4)
	v_fma_f64 v[50:51], v[58:59], s[12:13], v[50:51]
	v_fma_f64 v[24:25], v[28:29], s[14:15], v[24:25]
	s_delay_alu instid0(VALU_DEP_4) | instskip(SKIP_4) | instid1(VALU_DEP_4)
	v_fma_f64 v[28:29], v[28:29], s[14:15], v[48:49]
	v_add_f64_e32 v[48:49], v[32:33], v[44:45]
	v_fma_f64 v[26:27], v[30:31], s[14:15], v[26:27]
	v_fma_f64 v[30:31], v[30:31], s[14:15], v[50:51]
	v_add_f64_e32 v[50:51], v[34:35], v[46:47]
	v_fma_f64 v[48:49], v[48:49], -0.5, v[20:21]
	v_add_f64_e32 v[20:21], v[20:21], v[32:33]
	v_add_f64_e64 v[32:33], v[36:37], -v[32:33]
	s_delay_alu instid0(VALU_DEP_4) | instskip(SKIP_4) | instid1(VALU_DEP_4)
	v_fma_f64 v[50:51], v[50:51], -0.5, v[22:23]
	v_add_f64_e32 v[22:23], v[22:23], v[34:35]
	v_add_f64_e64 v[34:35], v[38:39], -v[34:35]
	v_add_f64_e32 v[20:21], v[20:21], v[36:37]
	v_add_f64_e64 v[36:37], v[40:41], -v[44:45]
	;; [unrolled: 2-line block ×3, first 2 shown]
	s_delay_alu instid0(VALU_DEP_4)
	v_add_f64_e32 v[20:21], v[20:21], v[40:41]
	v_fma_f64 v[40:41], v[54:55], s[16:17], v[48:49]
	v_add_f64_e32 v[36:37], v[32:33], v[36:37]
	v_add_f64_e32 v[22:23], v[22:23], v[42:43]
	v_fma_f64 v[42:43], v[54:55], s[18:19], v[48:49]
	v_add_f64_e32 v[20:21], v[20:21], v[44:45]
	v_fma_f64 v[44:45], v[58:59], s[18:19], v[50:51]
	;; [unrolled: 2-line block ×4, first 2 shown]
	v_fma_f64 v[40:41], v[52:53], s[2:3], v[42:43]
	v_fma_f64 v[34:35], v[56:57], s[2:3], v[44:45]
	v_add_f64_e32 v[44:45], v[62:63], v[72:73]
	v_fma_f64 v[32:33], v[36:37], s[14:15], v[32:33]
	v_add_f64_e64 v[58:59], v[60:61], -v[74:75]
	v_fma_f64 v[42:43], v[56:57], s[12:13], v[46:47]
	v_fma_f64 v[36:37], v[36:37], s[14:15], v[40:41]
	;; [unrolled: 1-line block ×3, first 2 shown]
	v_add_f64_e64 v[40:41], v[64:65], -v[62:63]
	v_add_f64_e64 v[56:57], v[68:69], -v[66:67]
	v_fma_f64 v[38:39], v[38:39], s[14:15], v[42:43]
	v_add_f64_e64 v[42:43], v[70:71], -v[72:73]
	s_delay_alu instid0(VALU_DEP_1) | instskip(SKIP_2) | instid1(VALU_DEP_1)
	v_add_f64_e32 v[48:49], v[40:41], v[42:43]
	v_add_f64_e64 v[40:41], v[68:69], -v[60:61]
	v_add_f64_e64 v[42:43], v[66:67], -v[74:75]
	v_add_f64_e32 v[50:51], v[40:41], v[42:43]
	ds_load_b128 v[40:43], v230 offset:4000
	global_wb scope:SCOPE_SE
	s_wait_dscnt 0x0
	s_barrier_signal -1
	s_barrier_wait -1
	global_inv scope:SCOPE_SE
	v_fma_f64 v[52:53], v[44:45], -0.5, v[40:41]
	v_add_f64_e32 v[44:45], v[60:61], v[74:75]
	s_delay_alu instid0(VALU_DEP_1) | instskip(NEXT) | instid1(VALU_DEP_3)
	v_fma_f64 v[54:55], v[44:45], -0.5, v[42:43]
	v_fma_f64 v[44:45], v[56:57], s[16:17], v[52:53]
	v_fma_f64 v[52:53], v[56:57], s[18:19], v[52:53]
	s_delay_alu instid0(VALU_DEP_3) | instskip(SKIP_1) | instid1(VALU_DEP_4)
	v_fma_f64 v[46:47], v[76:77], s[18:19], v[54:55]
	v_fma_f64 v[54:55], v[76:77], s[16:17], v[54:55]
	;; [unrolled: 1-line block ×3, first 2 shown]
	s_delay_alu instid0(VALU_DEP_4) | instskip(NEXT) | instid1(VALU_DEP_4)
	v_fma_f64 v[52:53], v[58:59], s[2:3], v[52:53]
	v_fma_f64 v[46:47], v[78:79], s[2:3], v[46:47]
	s_delay_alu instid0(VALU_DEP_4) | instskip(NEXT) | instid1(VALU_DEP_4)
	v_fma_f64 v[54:55], v[78:79], s[12:13], v[54:55]
	v_fma_f64 v[44:45], v[48:49], s[14:15], v[44:45]
	s_delay_alu instid0(VALU_DEP_4) | instskip(SKIP_4) | instid1(VALU_DEP_4)
	v_fma_f64 v[48:49], v[48:49], s[14:15], v[52:53]
	v_add_f64_e32 v[52:53], v[64:65], v[70:71]
	v_fma_f64 v[46:47], v[50:51], s[14:15], v[46:47]
	v_fma_f64 v[50:51], v[50:51], s[14:15], v[54:55]
	v_add_f64_e32 v[54:55], v[68:69], v[66:67]
	v_fma_f64 v[52:53], v[52:53], -0.5, v[40:41]
	v_add_f64_e32 v[40:41], v[40:41], v[62:63]
	v_add_f64_e64 v[62:63], v[62:63], -v[64:65]
	s_delay_alu instid0(VALU_DEP_4) | instskip(SKIP_4) | instid1(VALU_DEP_4)
	v_fma_f64 v[54:55], v[54:55], -0.5, v[42:43]
	v_add_f64_e32 v[42:43], v[42:43], v[60:61]
	v_add_f64_e64 v[60:61], v[60:61], -v[68:69]
	v_add_f64_e32 v[40:41], v[40:41], v[64:65]
	v_add_f64_e64 v[64:65], v[72:73], -v[70:71]
	v_add_f64_e32 v[42:43], v[42:43], v[68:69]
	v_fma_f64 v[68:69], v[58:59], s[18:19], v[52:53]
	v_fma_f64 v[52:53], v[58:59], s[16:17], v[52:53]
	;; [unrolled: 1-line block ×4, first 2 shown]
	v_add_f64_e32 v[40:41], v[40:41], v[70:71]
	v_add_f64_e32 v[62:63], v[62:63], v[64:65]
	;; [unrolled: 1-line block ×3, first 2 shown]
	v_add_f64_e64 v[66:67], v[74:75], -v[66:67]
	v_fma_f64 v[64:65], v[56:57], s[12:13], v[68:69]
	v_fma_f64 v[58:59], v[76:77], s[2:3], v[58:59]
	;; [unrolled: 1-line block ×3, first 2 shown]
	v_add_f64_e32 v[40:41], v[40:41], v[72:73]
	s_mul_u64 s[2:3], s[4:5], 0x1770
	v_add_f64_e32 v[42:43], v[42:43], v[74:75]
	v_add_f64_e32 v[60:61], v[60:61], v[66:67]
	v_fma_f64 v[66:67], v[76:77], s[12:13], v[54:55]
	v_fma_f64 v[52:53], v[62:63], s[14:15], v[64:65]
	;; [unrolled: 1-line block ×3, first 2 shown]
	s_delay_alu instid0(VALU_DEP_4) | instskip(NEXT) | instid1(VALU_DEP_4)
	v_fma_f64 v[54:55], v[60:61], s[14:15], v[58:59]
	v_fma_f64 v[58:59], v[60:61], s[14:15], v[66:67]
	ds_store_b128 v230, v[0:3]
	ds_store_b128 v230, v[20:23] offset:10000
	ds_store_b128 v230, v[4:7] offset:2000
	ds_store_b128 v230, v[12:15] offset:4000
	ds_store_b128 v230, v[16:19] offset:6000
	ds_store_b128 v230, v[8:11] offset:8000
	ds_store_b128 v230, v[24:27] offset:12000
	ds_store_b128 v230, v[32:35] offset:14000
	ds_store_b128 v230, v[36:39] offset:16000
	ds_store_b128 v230, v[28:31] offset:18000
	ds_store_b128 v242, v[40:43] offset:20000
	ds_store_b128 v242, v[52:55] offset:22000
	ds_store_b128 v242, v[44:47] offset:24000
	ds_store_b128 v242, v[48:51] offset:26000
	ds_store_b128 v242, v[56:59] offset:28000
	global_wb scope:SCOPE_SE
	s_wait_dscnt 0x0
	s_barrier_signal -1
	s_barrier_wait -1
	global_inv scope:SCOPE_SE
	scratch_load_b128 v[6:9], off, off offset:448 th:TH_LOAD_LU ; 16-byte Folded Reload
	ds_load_b128 v[0:3], v230 offset:10000
	s_wait_loadcnt_dscnt 0x0
	v_mul_f64_e32 v[4:5], v[8:9], v[2:3]
	s_delay_alu instid0(VALU_DEP_1) | instskip(SKIP_1) | instid1(VALU_DEP_1)
	v_fma_f64 v[4:5], v[6:7], v[0:1], v[4:5]
	v_mul_f64_e32 v[0:1], v[8:9], v[0:1]
	v_fma_f64 v[6:7], v[6:7], v[2:3], -v[0:1]
	ds_load_b128 v[0:3], v230 offset:20000
	s_wait_dscnt 0x0
	v_mul_f64_e32 v[8:9], v[118:119], v[2:3]
	s_delay_alu instid0(VALU_DEP_1) | instskip(SKIP_1) | instid1(VALU_DEP_1)
	v_fma_f64 v[8:9], v[116:117], v[0:1], v[8:9]
	v_mul_f64_e32 v[0:1], v[118:119], v[0:1]
	v_fma_f64 v[10:11], v[116:117], v[2:3], -v[0:1]
	ds_load_b128 v[0:3], v230 offset:12000
	s_wait_dscnt 0x0
	v_mul_f64_e32 v[12:13], v[126:127], v[2:3]
	v_add_f64_e32 v[14:15], v[6:7], v[10:11]
	s_delay_alu instid0(VALU_DEP_2) | instskip(SKIP_1) | instid1(VALU_DEP_1)
	v_fma_f64 v[16:17], v[124:125], v[0:1], v[12:13]
	v_mul_f64_e32 v[0:1], v[126:127], v[0:1]
	v_fma_f64 v[18:19], v[124:125], v[2:3], -v[0:1]
	ds_load_b128 v[0:3], v230 offset:22000
	s_wait_dscnt 0x0
	v_mul_f64_e32 v[12:13], v[130:131], v[2:3]
	s_delay_alu instid0(VALU_DEP_1) | instskip(SKIP_1) | instid1(VALU_DEP_2)
	v_fma_f64 v[20:21], v[128:129], v[0:1], v[12:13]
	v_mul_f64_e32 v[0:1], v[130:131], v[0:1]
	v_add_f64_e32 v[24:25], v[16:17], v[20:21]
	s_delay_alu instid0(VALU_DEP_2) | instskip(SKIP_4) | instid1(VALU_DEP_2)
	v_fma_f64 v[22:23], v[128:129], v[2:3], -v[0:1]
	ds_load_b128 v[0:3], v230 offset:14000
	s_wait_dscnt 0x0
	v_mul_f64_e32 v[12:13], v[134:135], v[2:3]
	v_add_f64_e32 v[26:27], v[18:19], v[22:23]
	v_fma_f64 v[28:29], v[132:133], v[0:1], v[12:13]
	v_mul_f64_e32 v[0:1], v[134:135], v[0:1]
	s_delay_alu instid0(VALU_DEP_1) | instskip(SKIP_3) | instid1(VALU_DEP_1)
	v_fma_f64 v[30:31], v[132:133], v[2:3], -v[0:1]
	ds_load_b128 v[0:3], v230 offset:24000
	s_wait_dscnt 0x0
	v_mul_f64_e32 v[12:13], v[146:147], v[2:3]
	v_fma_f64 v[32:33], v[144:145], v[0:1], v[12:13]
	v_mul_f64_e32 v[0:1], v[146:147], v[0:1]
	s_delay_alu instid0(VALU_DEP_2) | instskip(NEXT) | instid1(VALU_DEP_2)
	v_add_f64_e32 v[36:37], v[28:29], v[32:33]
	v_fma_f64 v[34:35], v[144:145], v[2:3], -v[0:1]
	ds_load_b128 v[0:3], v230 offset:16000
	s_wait_dscnt 0x0
	v_mul_f64_e32 v[12:13], v[162:163], v[2:3]
	v_add_f64_e32 v[38:39], v[30:31], v[34:35]
	s_delay_alu instid0(VALU_DEP_2) | instskip(SKIP_1) | instid1(VALU_DEP_1)
	v_fma_f64 v[40:41], v[160:161], v[0:1], v[12:13]
	v_mul_f64_e32 v[0:1], v[162:163], v[0:1]
	v_fma_f64 v[42:43], v[160:161], v[2:3], -v[0:1]
	ds_load_b128 v[0:3], v230 offset:26000
	s_wait_dscnt 0x0
	v_mul_f64_e32 v[12:13], v[174:175], v[2:3]
	s_delay_alu instid0(VALU_DEP_1) | instskip(SKIP_1) | instid1(VALU_DEP_2)
	v_fma_f64 v[44:45], v[172:173], v[0:1], v[12:13]
	v_mul_f64_e32 v[0:1], v[174:175], v[0:1]
	v_add_f64_e32 v[48:49], v[40:41], v[44:45]
	s_delay_alu instid0(VALU_DEP_2) | instskip(SKIP_4) | instid1(VALU_DEP_2)
	v_fma_f64 v[46:47], v[172:173], v[2:3], -v[0:1]
	ds_load_b128 v[0:3], v230 offset:18000
	s_wait_dscnt 0x0
	v_mul_f64_e32 v[12:13], v[178:179], v[2:3]
	v_add_f64_e32 v[50:51], v[42:43], v[46:47]
	v_fma_f64 v[52:53], v[176:177], v[0:1], v[12:13]
	v_mul_f64_e32 v[0:1], v[178:179], v[0:1]
	s_delay_alu instid0(VALU_DEP_1) | instskip(SKIP_3) | instid1(VALU_DEP_1)
	v_fma_f64 v[54:55], v[176:177], v[2:3], -v[0:1]
	ds_load_b128 v[0:3], v230 offset:28000
	s_wait_dscnt 0x0
	v_mul_f64_e32 v[12:13], v[190:191], v[2:3]
	v_fma_f64 v[56:57], v[188:189], v[0:1], v[12:13]
	v_mul_f64_e32 v[0:1], v[190:191], v[0:1]
	v_add_f64_e32 v[12:13], v[4:5], v[8:9]
	s_delay_alu instid0(VALU_DEP_3) | instskip(NEXT) | instid1(VALU_DEP_3)
	v_add_f64_e32 v[60:61], v[52:53], v[56:57]
	v_fma_f64 v[58:59], v[188:189], v[2:3], -v[0:1]
	ds_load_b128 v[0:3], v230
	s_wait_dscnt 0x0
	v_fma_f64 v[14:15], v[14:15], -0.5, v[2:3]
	v_add_f64_e32 v[2:3], v[2:3], v[6:7]
	v_fma_f64 v[12:13], v[12:13], -0.5, v[0:1]
	v_add_f64_e32 v[0:1], v[0:1], v[4:5]
	v_add_f64_e64 v[6:7], v[6:7], -v[10:11]
	v_add_f64_e32 v[62:63], v[54:55], v[58:59]
	v_add_f64_e32 v[2:3], v[2:3], v[10:11]
	v_add_f64_e64 v[10:11], v[4:5], -v[8:9]
	v_add_f64_e32 v[0:1], v[0:1], v[8:9]
	v_fma_f64 v[4:5], v[6:7], s[20:21], v[12:13]
	v_fma_f64 v[8:9], v[6:7], s[10:11], v[12:13]
	s_delay_alu instid0(VALU_DEP_4)
	v_fma_f64 v[6:7], v[10:11], s[10:11], v[14:15]
	v_fma_f64 v[10:11], v[10:11], s[20:21], v[14:15]
	ds_load_b128 v[12:15], v230 offset:2000
	s_wait_dscnt 0x0
	v_fma_f64 v[26:27], v[26:27], -0.5, v[14:15]
	v_add_f64_e32 v[14:15], v[14:15], v[18:19]
	v_fma_f64 v[24:25], v[24:25], -0.5, v[12:13]
	v_add_f64_e32 v[12:13], v[12:13], v[16:17]
	v_add_f64_e64 v[18:19], v[18:19], -v[22:23]
	s_delay_alu instid0(VALU_DEP_4) | instskip(SKIP_1) | instid1(VALU_DEP_4)
	v_add_f64_e32 v[14:15], v[14:15], v[22:23]
	v_add_f64_e64 v[22:23], v[16:17], -v[20:21]
	v_add_f64_e32 v[12:13], v[12:13], v[20:21]
	s_delay_alu instid0(VALU_DEP_4) | instskip(SKIP_1) | instid1(VALU_DEP_4)
	v_fma_f64 v[16:17], v[18:19], s[20:21], v[24:25]
	v_fma_f64 v[20:21], v[18:19], s[10:11], v[24:25]
	v_fma_f64 v[18:19], v[22:23], s[10:11], v[26:27]
	v_fma_f64 v[22:23], v[22:23], s[20:21], v[26:27]
	ds_load_b128 v[24:27], v230 offset:4000
	s_wait_dscnt 0x0
	v_fma_f64 v[38:39], v[38:39], -0.5, v[26:27]
	v_add_f64_e32 v[26:27], v[26:27], v[30:31]
	v_fma_f64 v[36:37], v[36:37], -0.5, v[24:25]
	v_add_f64_e32 v[24:25], v[24:25], v[28:29]
	v_add_f64_e64 v[30:31], v[30:31], -v[34:35]
	s_delay_alu instid0(VALU_DEP_4) | instskip(SKIP_1) | instid1(VALU_DEP_4)
	v_add_f64_e32 v[26:27], v[26:27], v[34:35]
	v_add_f64_e64 v[34:35], v[28:29], -v[32:33]
	v_add_f64_e32 v[24:25], v[24:25], v[32:33]
	s_delay_alu instid0(VALU_DEP_4) | instskip(SKIP_1) | instid1(VALU_DEP_4)
	v_fma_f64 v[28:29], v[30:31], s[20:21], v[36:37]
	v_fma_f64 v[32:33], v[30:31], s[10:11], v[36:37]
	;; [unrolled: 16-line block ×4, first 2 shown]
	v_fma_f64 v[54:55], v[58:59], s[10:11], v[62:63]
	v_fma_f64 v[58:59], v[58:59], s[20:21], v[62:63]
	ds_store_b128 v230, v[0:3]
	ds_store_b128 v230, v[12:15] offset:2000
	ds_store_b128 v230, v[24:27] offset:4000
	;; [unrolled: 1-line block ×14, first 2 shown]
	global_wb scope:SCOPE_SE
	s_wait_dscnt 0x0
	s_barrier_signal -1
	s_barrier_wait -1
	global_inv scope:SCOPE_SE
	s_clause 0x4
	scratch_load_b128 v[6:9], off, off offset:232 th:TH_LOAD_LU
	scratch_load_b128 v[10:13], off, off offset:8 th:TH_LOAD_LU
	;; [unrolled: 1-line block ×5, first 2 shown]
	ds_load_b128 v[0:3], v230
	s_clause 0x9
	scratch_load_b128 v[26:29], off, off offset:72 th:TH_LOAD_LU
	scratch_load_b128 v[30:33], off, off offset:88 th:TH_LOAD_LU
	;; [unrolled: 1-line block ×10, first 2 shown]
	s_wait_loadcnt_dscnt 0xe00
	v_mul_f64_e32 v[4:5], v[8:9], v[2:3]
	s_delay_alu instid0(VALU_DEP_1) | instskip(SKIP_1) | instid1(VALU_DEP_1)
	v_fma_f64 v[4:5], v[6:7], v[0:1], v[4:5]
	v_mul_f64_e32 v[0:1], v[8:9], v[0:1]
	v_fma_f64 v[6:7], v[6:7], v[2:3], -v[0:1]
	ds_load_b128 v[0:3], v230 offset:6000
	s_wait_loadcnt_dscnt 0xd00
	v_mul_f64_e32 v[8:9], v[12:13], v[2:3]
	s_delay_alu instid0(VALU_DEP_1) | instskip(SKIP_1) | instid1(VALU_DEP_1)
	v_fma_f64 v[8:9], v[10:11], v[0:1], v[8:9]
	v_mul_f64_e32 v[0:1], v[12:13], v[0:1]
	v_fma_f64 v[10:11], v[10:11], v[2:3], -v[0:1]
	ds_load_b128 v[0:3], v230 offset:12000
	;; [unrolled: 7-line block ×14, first 2 shown]
	s_wait_loadcnt_dscnt 0x0
	v_mul_f64_e32 v[60:61], v[64:65], v[2:3]
	s_delay_alu instid0(VALU_DEP_1) | instskip(SKIP_2) | instid1(VALU_DEP_2)
	v_fma_f64 v[60:61], v[62:63], v[0:1], v[60:61]
	v_mul_f64_e32 v[0:1], v[64:65], v[0:1]
	v_mov_b32_e32 v64, v253
	v_fma_f64 v[62:63], v[62:63], v[2:3], -v[0:1]
	scratch_load_b64 v[2:3], off, off th:TH_LOAD_LU ; 8-byte Folded Reload
	s_wait_loadcnt 0x0
	v_mad_co_u64_u32 v[0:1], null, s6, v2, 0
	s_delay_alu instid0(VALU_DEP_1) | instskip(SKIP_1) | instid1(VALU_DEP_2)
	v_mad_co_u64_u32 v[1:2], null, s7, v2, v[1:2]
	v_mad_co_u64_u32 v[2:3], null, s4, v64, 0
	v_lshlrev_b64_e32 v[0:1], 4, v[0:1]
	s_delay_alu instid0(VALU_DEP_2) | instskip(SKIP_3) | instid1(VALU_DEP_1)
	v_mad_co_u64_u32 v[64:65], null, s5, v64, v[3:4]
	s_mulk_i32 s5, 0xaa10
	s_wait_alu 0xfffe
	s_sub_co_i32 s5, s5, s4
	v_mov_b32_e32 v3, v64
	v_add_co_u32 v64, vcc_lo, s0, v0
	s_wait_alu 0xfffd
	v_add_co_ci_u32_e32 v65, vcc_lo, s1, v1, vcc_lo
	s_delay_alu instid0(VALU_DEP_3)
	v_lshlrev_b64_e32 v[0:1], 4, v[2:3]
	s_mov_b32 s0, 0x9cbd821e
	s_mov_b32 s1, 0x3f4179ec
	s_wait_alu 0xfffe
	v_mul_f64_e32 v[2:3], s[0:1], v[6:7]
	v_mul_f64_e32 v[6:7], s[0:1], v[38:39]
	v_add_co_u32 v64, vcc_lo, v64, v0
	s_wait_alu 0xfffd
	v_add_co_ci_u32_e32 v65, vcc_lo, v65, v1, vcc_lo
	v_mul_f64_e32 v[0:1], s[0:1], v[4:5]
	s_delay_alu instid0(VALU_DEP_3) | instskip(SKIP_1) | instid1(VALU_DEP_3)
	v_add_co_u32 v4, vcc_lo, v64, s2
	s_wait_alu 0xfffd
	v_add_co_ci_u32_e32 v5, vcc_lo, s3, v65, vcc_lo
	global_store_b128 v[64:65], v[0:3], off
	v_mul_f64_e32 v[0:1], s[0:1], v[8:9]
	v_mul_f64_e32 v[2:3], s[0:1], v[10:11]
	;; [unrolled: 1-line block ×3, first 2 shown]
	global_store_b128 v[4:5], v[0:3], off
	v_mul_f64_e32 v[0:1], s[0:1], v[12:13]
	v_mul_f64_e32 v[2:3], s[0:1], v[14:15]
	v_add_co_u32 v4, vcc_lo, v4, s2
	s_wait_alu 0xfffd
	v_add_co_ci_u32_e32 v5, vcc_lo, s3, v5, vcc_lo
	v_mul_f64_e32 v[12:13], s[0:1], v[48:49]
	v_mul_f64_e32 v[14:15], s[0:1], v[50:51]
	global_store_b128 v[4:5], v[0:3], off
	v_mul_f64_e32 v[0:1], s[0:1], v[16:17]
	v_mul_f64_e32 v[2:3], s[0:1], v[18:19]
	v_add_co_u32 v4, vcc_lo, v4, s2
	s_wait_alu 0xfffd
	v_add_co_ci_u32_e32 v5, vcc_lo, s3, v5, vcc_lo
	v_mul_f64_e32 v[16:17], s[0:1], v[52:53]
	v_mul_f64_e32 v[18:19], s[0:1], v[54:55]
	;; [unrolled: 8-line block ×3, first 2 shown]
	global_store_b128 v[4:5], v[0:3], off
	v_mul_f64_e32 v[0:1], s[0:1], v[24:25]
	v_mul_f64_e32 v[2:3], s[0:1], v[26:27]
	v_mad_co_u64_u32 v[4:5], null, 0xffffaa10, s4, v[4:5]
	v_mul_f64_e32 v[24:25], s[0:1], v[60:61]
	v_mul_f64_e32 v[26:27], s[0:1], v[62:63]
	s_delay_alu instid0(VALU_DEP_3)
	v_add_nc_u32_e32 v5, s5, v5
	global_store_b128 v[4:5], v[0:3], off
	v_mul_f64_e32 v[0:1], s[0:1], v[28:29]
	v_mul_f64_e32 v[2:3], s[0:1], v[30:31]
	v_add_co_u32 v4, vcc_lo, v4, s2
	s_wait_alu 0xfffd
	v_add_co_ci_u32_e32 v5, vcc_lo, s3, v5, vcc_lo
	s_delay_alu instid0(VALU_DEP_2) | instskip(SKIP_1) | instid1(VALU_DEP_2)
	v_add_co_u32 v8, vcc_lo, v4, s2
	s_wait_alu 0xfffd
	v_add_co_ci_u32_e32 v9, vcc_lo, s3, v5, vcc_lo
	s_delay_alu instid0(VALU_DEP_2) | instskip(SKIP_1) | instid1(VALU_DEP_2)
	;; [unrolled: 4-line block ×3, first 2 shown]
	v_add_co_u32 v30, vcc_lo, v28, s2
	s_wait_alu 0xfffd
	v_add_co_ci_u32_e32 v31, vcc_lo, s3, v29, vcc_lo
	global_store_b128 v[4:5], v[0:3], off
	v_mul_f64_e32 v[0:1], s[0:1], v[32:33]
	v_mul_f64_e32 v[2:3], s[0:1], v[34:35]
	v_mul_f64_e32 v[4:5], s[0:1], v[36:37]
	v_mad_co_u64_u32 v[32:33], null, 0xffffaa10, s4, v[30:31]
	s_delay_alu instid0(VALU_DEP_1) | instskip(NEXT) | instid1(VALU_DEP_2)
	v_add_nc_u32_e32 v33, s5, v33
	v_add_co_u32 v34, vcc_lo, v32, s2
	s_wait_alu 0xfffd
	s_delay_alu instid0(VALU_DEP_2)
	v_add_co_ci_u32_e32 v35, vcc_lo, s3, v33, vcc_lo
	global_store_b128 v[8:9], v[0:3], off
	v_mul_f64_e32 v[0:1], s[0:1], v[40:41]
	v_mul_f64_e32 v[2:3], s[0:1], v[42:43]
	;; [unrolled: 1-line block ×3, first 2 shown]
	global_store_b128 v[28:29], v[4:7], off
	v_add_co_u32 v4, vcc_lo, v34, s2
	s_wait_alu 0xfffd
	v_add_co_ci_u32_e32 v5, vcc_lo, s3, v35, vcc_lo
	s_delay_alu instid0(VALU_DEP_2) | instskip(SKIP_1) | instid1(VALU_DEP_2)
	v_add_co_u32 v6, vcc_lo, v4, s2
	s_wait_alu 0xfffd
	v_add_co_ci_u32_e32 v7, vcc_lo, s3, v5, vcc_lo
	s_delay_alu instid0(VALU_DEP_2) | instskip(SKIP_1) | instid1(VALU_DEP_2)
	v_add_co_u32 v28, vcc_lo, v6, s2
	s_wait_alu 0xfffd
	v_add_co_ci_u32_e32 v29, vcc_lo, s3, v7, vcc_lo
	global_store_b128 v[30:31], v[0:3], off
	global_store_b128 v[32:33], v[8:11], off
	;; [unrolled: 1-line block ×6, first 2 shown]
.LBB0_2:
	s_nop 0
	s_sendmsg sendmsg(MSG_DEALLOC_VGPRS)
	s_endpgm
	.section	.rodata,"a",@progbits
	.p2align	6, 0x0
	.amdhsa_kernel bluestein_single_back_len1875_dim1_dp_op_CI_CI
		.amdhsa_group_segment_fixed_size 60000
		.amdhsa_private_segment_fixed_size 472
		.amdhsa_kernarg_size 104
		.amdhsa_user_sgpr_count 2
		.amdhsa_user_sgpr_dispatch_ptr 0
		.amdhsa_user_sgpr_queue_ptr 0
		.amdhsa_user_sgpr_kernarg_segment_ptr 1
		.amdhsa_user_sgpr_dispatch_id 0
		.amdhsa_user_sgpr_private_segment_size 0
		.amdhsa_wavefront_size32 1
		.amdhsa_uses_dynamic_stack 0
		.amdhsa_enable_private_segment 1
		.amdhsa_system_sgpr_workgroup_id_x 1
		.amdhsa_system_sgpr_workgroup_id_y 0
		.amdhsa_system_sgpr_workgroup_id_z 0
		.amdhsa_system_sgpr_workgroup_info 0
		.amdhsa_system_vgpr_workitem_id 0
		.amdhsa_next_free_vgpr 256
		.amdhsa_next_free_sgpr 22
		.amdhsa_reserve_vcc 1
		.amdhsa_float_round_mode_32 0
		.amdhsa_float_round_mode_16_64 0
		.amdhsa_float_denorm_mode_32 3
		.amdhsa_float_denorm_mode_16_64 3
		.amdhsa_fp16_overflow 0
		.amdhsa_workgroup_processor_mode 1
		.amdhsa_memory_ordered 1
		.amdhsa_forward_progress 0
		.amdhsa_round_robin_scheduling 0
		.amdhsa_exception_fp_ieee_invalid_op 0
		.amdhsa_exception_fp_denorm_src 0
		.amdhsa_exception_fp_ieee_div_zero 0
		.amdhsa_exception_fp_ieee_overflow 0
		.amdhsa_exception_fp_ieee_underflow 0
		.amdhsa_exception_fp_ieee_inexact 0
		.amdhsa_exception_int_div_zero 0
	.end_amdhsa_kernel
	.text
.Lfunc_end0:
	.size	bluestein_single_back_len1875_dim1_dp_op_CI_CI, .Lfunc_end0-bluestein_single_back_len1875_dim1_dp_op_CI_CI
                                        ; -- End function
	.section	.AMDGPU.csdata,"",@progbits
; Kernel info:
; codeLenInByte = 23080
; NumSgprs: 24
; NumVgprs: 256
; ScratchSize: 472
; MemoryBound: 0
; FloatMode: 240
; IeeeMode: 1
; LDSByteSize: 60000 bytes/workgroup (compile time only)
; SGPRBlocks: 2
; VGPRBlocks: 31
; NumSGPRsForWavesPerEU: 24
; NumVGPRsForWavesPerEU: 256
; Occupancy: 4
; WaveLimiterHint : 1
; COMPUTE_PGM_RSRC2:SCRATCH_EN: 1
; COMPUTE_PGM_RSRC2:USER_SGPR: 2
; COMPUTE_PGM_RSRC2:TRAP_HANDLER: 0
; COMPUTE_PGM_RSRC2:TGID_X_EN: 1
; COMPUTE_PGM_RSRC2:TGID_Y_EN: 0
; COMPUTE_PGM_RSRC2:TGID_Z_EN: 0
; COMPUTE_PGM_RSRC2:TIDIG_COMP_CNT: 0
	.text
	.p2alignl 7, 3214868480
	.fill 96, 4, 3214868480
	.type	__hip_cuid_e9a8cb4f87aecf0c,@object ; @__hip_cuid_e9a8cb4f87aecf0c
	.section	.bss,"aw",@nobits
	.globl	__hip_cuid_e9a8cb4f87aecf0c
__hip_cuid_e9a8cb4f87aecf0c:
	.byte	0                               ; 0x0
	.size	__hip_cuid_e9a8cb4f87aecf0c, 1

	.ident	"AMD clang version 19.0.0git (https://github.com/RadeonOpenCompute/llvm-project roc-6.4.0 25133 c7fe45cf4b819c5991fe208aaa96edf142730f1d)"
	.section	".note.GNU-stack","",@progbits
	.addrsig
	.addrsig_sym __hip_cuid_e9a8cb4f87aecf0c
	.amdgpu_metadata
---
amdhsa.kernels:
  - .args:
      - .actual_access:  read_only
        .address_space:  global
        .offset:         0
        .size:           8
        .value_kind:     global_buffer
      - .actual_access:  read_only
        .address_space:  global
        .offset:         8
        .size:           8
        .value_kind:     global_buffer
      - .actual_access:  read_only
        .address_space:  global
        .offset:         16
        .size:           8
        .value_kind:     global_buffer
      - .actual_access:  read_only
        .address_space:  global
        .offset:         24
        .size:           8
        .value_kind:     global_buffer
      - .actual_access:  read_only
        .address_space:  global
        .offset:         32
        .size:           8
        .value_kind:     global_buffer
      - .offset:         40
        .size:           8
        .value_kind:     by_value
      - .address_space:  global
        .offset:         48
        .size:           8
        .value_kind:     global_buffer
      - .address_space:  global
        .offset:         56
        .size:           8
        .value_kind:     global_buffer
      - .address_space:  global
        .offset:         64
        .size:           8
        .value_kind:     global_buffer
      - .address_space:  global
        .offset:         72
        .size:           8
        .value_kind:     global_buffer
      - .offset:         80
        .size:           4
        .value_kind:     by_value
      - .address_space:  global
        .offset:         88
        .size:           8
        .value_kind:     global_buffer
      - .address_space:  global
        .offset:         96
        .size:           8
        .value_kind:     global_buffer
    .group_segment_fixed_size: 60000
    .kernarg_segment_align: 8
    .kernarg_segment_size: 104
    .language:       OpenCL C
    .language_version:
      - 2
      - 0
    .max_flat_workgroup_size: 250
    .name:           bluestein_single_back_len1875_dim1_dp_op_CI_CI
    .private_segment_fixed_size: 472
    .sgpr_count:     24
    .sgpr_spill_count: 0
    .symbol:         bluestein_single_back_len1875_dim1_dp_op_CI_CI.kd
    .uniform_work_group_size: 1
    .uses_dynamic_stack: false
    .vgpr_count:     256
    .vgpr_spill_count: 117
    .wavefront_size: 32
    .workgroup_processor_mode: 1
amdhsa.target:   amdgcn-amd-amdhsa--gfx1201
amdhsa.version:
  - 1
  - 2
...

	.end_amdgpu_metadata
